;; amdgpu-corpus repo=llvm/llvm-project kind=harvested arch=n/a opt=n/a
// NOTE: Assertions have been autogenerated by utils/update_mc_test_checks.py UTC_ARGS: --version 6
// RUN: not llvm-mc -triple=amdgcn -mcpu=gfx1310 -mattr=+real-true16,+wavefrontsize32 -show-encoding %s | FileCheck --check-prefixes=GFX13,W32 %s
// RUN: not llvm-mc -triple=amdgcn -mcpu=gfx1310 -mattr=+real-true16,+wavefrontsize64 -show-encoding %s | FileCheck --check-prefixes=GFX13,W64 %s
// RUN: not llvm-mc -triple=amdgcn -mcpu=gfx1310 -mattr=+real-true16,+wavefrontsize32 -filetype=null %s 2>&1 | FileCheck --check-prefix=W32-ERR --implicit-check-not=error: %s
// RUN: not llvm-mc -triple=amdgcn -mcpu=gfx1310 -mattr=+real-true16,+wavefrontsize64 -filetype=null %s 2>&1 | FileCheck --check-prefix=W64-ERR --implicit-check-not=error: %s

v_add_co_ci_u32_e32 v5, vcc_lo, v1, v2, vcc_lo
// W32: v_add_co_ci_u32_e32 v5, vcc_lo, v1, v2, vcc_lo ; encoding: [0x01,0x05,0x0a,0x50]
// W64-ERR: :[[@LINE-2]]:1: error: operands are not valid for this GPU or mode

v_add_co_ci_u32 v5, vcc_lo, v255, v2, vcc_lo
// W32: v_add_co_ci_u32_e32 v5, vcc_lo, v255, v2, vcc_lo ; encoding: [0xff,0x05,0x0a,0x50]
// W64-ERR: :[[@LINE-2]]:1: error: operands are not valid for this GPU or mode

v_add_co_ci_u32 v5, vcc_lo, s1, v2, vcc_lo
	;; [unrolled: 4-line block ×3, first 2 shown]
// W32: v_add_co_ci_u32_e32 v5, vcc_lo, s105, v2, vcc_lo ; encoding: [0x69,0x04,0x0a,0x50]
// W64-ERR: :[[@LINE-2]]:1: error: operands are not valid for this GPU or mode

v_add_co_ci_u32 v5, vcc_lo, vcc_lo, v2, vcc_lo
// W32: v_add_co_ci_u32_e32 v5, vcc_lo, vcc_lo, v2, vcc_lo ; encoding: [0x6a,0x04,0x0a,0x50]
// W64-ERR: :[[@LINE-2]]:1: error: operands are not valid for this GPU or mode

v_add_co_ci_u32 v5, vcc_lo, vcc_hi, v2, vcc_lo
// W32: v_add_co_ci_u32_e32 v5, vcc_lo, vcc_hi, v2, vcc_lo ; encoding: [0x6b,0x04,0x0a,0x50]
// W64-ERR: :[[@LINE-2]]:1: error: operands are not valid for this GPU or mode

v_add_co_ci_u32 v5, vcc_lo, ttmp15, v2, vcc_lo
// W32: v_add_co_ci_u32_e32 v5, vcc_lo, ttmp15, v2, vcc_lo ; encoding: [0x7b,0x04,0x0a,0x50]
// W64-ERR: :[[@LINE-2]]:1: error: operands are not valid for this GPU or mode

v_add_co_ci_u32 v5, vcc_lo, m0, v2, vcc_lo
// W32: v_add_co_ci_u32_e32 v5, vcc_lo, m0, v2, vcc_lo ; encoding: [0x7d,0x04,0x0a,0x50]
// W64-ERR: :[[@LINE-2]]:1: error: operands are not valid for this GPU or mode

v_add_co_ci_u32 v5, vcc_lo, exec_lo, v2, vcc_lo
// W32: v_add_co_ci_u32_e32 v5, vcc_lo, exec_lo, v2, vcc_lo ; encoding: [0x7e,0x04,0x0a,0x50]
// W64-ERR: :[[@LINE-2]]:1: error: operands are not valid for this GPU or mode

v_add_co_ci_u32 v5, vcc_lo, exec_hi, v2, vcc_lo
// W32: v_add_co_ci_u32_e32 v5, vcc_lo, exec_hi, v2, vcc_lo ; encoding: [0x7f,0x04,0x0a,0x50]
// W64-ERR: :[[@LINE-2]]:1: error: operands are not valid for this GPU or mode

v_add_co_ci_u32 v5, vcc_lo, null, v2, vcc_lo
// W32: v_add_co_ci_u32_e32 v5, vcc_lo, null, v2, vcc_lo ; encoding: [0x7c,0x04,0x0a,0x50]
// W64-ERR: :[[@LINE-2]]:1: error: operands are not valid for this GPU or mode

v_add_co_ci_u32 v5, vcc_lo, -1, v2, vcc_lo
// W32: v_add_co_ci_u32_e32 v5, vcc_lo, -1, v2, vcc_lo ; encoding: [0xc1,0x04,0x0a,0x50]
// W64-ERR: :[[@LINE-2]]:1: error: operands are not valid for this GPU or mode

v_add_co_ci_u32 v5, vcc_lo, 0.5, v2, vcc_lo
// W32: v_add_co_ci_u32_e32 v5, vcc_lo, 0.5, v2, vcc_lo ; encoding: [0xf0,0x04,0x0a,0x50]
// W64-ERR: :[[@LINE-2]]:1: error: operands are not valid for this GPU or mode

v_add_co_ci_u32 v5, vcc_lo, src_scc, v2, vcc_lo
// W32: v_add_co_ci_u32_e32 v5, vcc_lo, src_scc, v2, vcc_lo ; encoding: [0xfd,0x04,0x0a,0x50]
// W64-ERR: :[[@LINE-2]]:1: error: operands are not valid for this GPU or mode

v_add_co_ci_u32 v255, vcc_lo, 0xaf123456, v255, vcc_lo
// W32: v_add_co_ci_u32_e32 v255, vcc_lo, 0xaf123456, v255, vcc_lo ; encoding: [0xff,0xfe,0xff,0x51,0x56,0x34,0x12,0xaf]
// W64-ERR: :[[@LINE-2]]:1: error: operands are not valid for this GPU or mode

v_add_co_ci_u32 v5, vcc, v1, v2, vcc
// W32-ERR: :[[@LINE-1]]:1: error: operands are not valid for this GPU or mode
// W64: v_add_co_ci_u32_e32 v5, vcc, v1, v2, vcc ; encoding: [0x01,0x05,0x0a,0x50]

v_add_co_ci_u32 v5, vcc, v255, v2, vcc
// W32-ERR: :[[@LINE-1]]:1: error: operands are not valid for this GPU or mode
// W64: v_add_co_ci_u32_e32 v5, vcc, v255, v2, vcc ; encoding: [0xff,0x05,0x0a,0x50]
	;; [unrolled: 4-line block ×4, first 2 shown]

v_add_co_ci_u32 v5, vcc, vcc_lo, v2, vcc
// W32-ERR: :[[@LINE-1]]:1: error: operands are not valid for this GPU or mode
// W64: v_add_co_ci_u32_e32 v5, vcc, vcc_lo, v2, vcc ; encoding: [0x6a,0x04,0x0a,0x50]

v_add_co_ci_u32 v5, vcc, vcc_hi, v2, vcc
// W32-ERR: :[[@LINE-1]]:1: error: operands are not valid for this GPU or mode
// W64: v_add_co_ci_u32_e32 v5, vcc, vcc_hi, v2, vcc ; encoding: [0x6b,0x04,0x0a,0x50]

v_add_co_ci_u32 v5, vcc, ttmp15, v2, vcc
// W32-ERR: :[[@LINE-1]]:1: error: operands are not valid for this GPU or mode
// W64: v_add_co_ci_u32_e32 v5, vcc, ttmp15, v2, vcc ; encoding: [0x7b,0x04,0x0a,0x50]

v_add_co_ci_u32 v5, vcc, m0, v2, vcc
// W32-ERR: :[[@LINE-1]]:1: error: operands are not valid for this GPU or mode
// W64: v_add_co_ci_u32_e32 v5, vcc, m0, v2, vcc ; encoding: [0x7d,0x04,0x0a,0x50]

v_add_co_ci_u32 v5, vcc, exec_lo, v2, vcc
// W32-ERR: :[[@LINE-1]]:1: error: operands are not valid for this GPU or mode
// W64: v_add_co_ci_u32_e32 v5, vcc, exec_lo, v2, vcc ; encoding: [0x7e,0x04,0x0a,0x50]

v_add_co_ci_u32 v5, vcc, exec_hi, v2, vcc
// W32-ERR: :[[@LINE-1]]:1: error: operands are not valid for this GPU or mode
// W64: v_add_co_ci_u32_e32 v5, vcc, exec_hi, v2, vcc ; encoding: [0x7f,0x04,0x0a,0x50]

v_add_co_ci_u32 v5, vcc, null, v2, vcc
// W32-ERR: :[[@LINE-1]]:1: error: operands are not valid for this GPU or mode
// W64: v_add_co_ci_u32_e32 v5, vcc, null, v2, vcc ; encoding: [0x7c,0x04,0x0a,0x50]

v_add_co_ci_u32 v5, vcc, -1, v2, vcc
// W32-ERR: :[[@LINE-1]]:1: error: operands are not valid for this GPU or mode
// W64: v_add_co_ci_u32_e32 v5, vcc, -1, v2, vcc ; encoding: [0xc1,0x04,0x0a,0x50]

v_add_co_ci_u32 v5, vcc, 0.5, v2, vcc
// W32-ERR: :[[@LINE-1]]:1: error: operands are not valid for this GPU or mode
// W64: v_add_co_ci_u32_e32 v5, vcc, 0.5, v2, vcc ; encoding: [0xf0,0x04,0x0a,0x50]

v_add_co_ci_u32 v5, vcc, src_scc, v2, vcc
// W32-ERR: :[[@LINE-1]]:1: error: operands are not valid for this GPU or mode
// W64: v_add_co_ci_u32_e32 v5, vcc, src_scc, v2, vcc ; encoding: [0xfd,0x04,0x0a,0x50]

v_add_co_ci_u32 v255, vcc, 0xaf123456, v255, vcc
// W32-ERR: :[[@LINE-1]]:1: error: operands are not valid for this GPU or mode
// W64: v_add_co_ci_u32_e32 v255, vcc, 0xaf123456, v255, vcc ; encoding: [0xff,0xfe,0xff,0x51,0x56,0x34,0x12,0xaf]

v_add_f16 v5.l, v1.l, v2.l
// GFX13: v_add_f16_e32 v5.l, v1.l, v2.l          ; encoding: [0x01,0x05,0x0a,0x64]

v_add_f16 v5.l, v127.l, v2.l
// GFX13: v_add_f16_e32 v5.l, v127.l, v2.l        ; encoding: [0x7f,0x05,0x0a,0x64]

v_add_f16 v5.l, s1, v2.l
// GFX13: v_add_f16_e32 v5.l, s1, v2.l            ; encoding: [0x01,0x04,0x0a,0x64]

v_add_f16 v5.l, s105, v2.l
// GFX13: v_add_f16_e32 v5.l, s105, v2.l          ; encoding: [0x69,0x04,0x0a,0x64]

v_add_f16 v5.l, vcc_lo, v2.l
// GFX13: v_add_f16_e32 v5.l, vcc_lo, v2.l        ; encoding: [0x6a,0x04,0x0a,0x64]

v_add_f16 v5.l, vcc_hi, v2.l
// GFX13: v_add_f16_e32 v5.l, vcc_hi, v2.l        ; encoding: [0x6b,0x04,0x0a,0x64]

v_add_f16 v5.l, ttmp15, v2.l
// GFX13: v_add_f16_e32 v5.l, ttmp15, v2.l        ; encoding: [0x7b,0x04,0x0a,0x64]

v_add_f16 v5.l, m0, v2.l
// GFX13: v_add_f16_e32 v5.l, m0, v2.l            ; encoding: [0x7d,0x04,0x0a,0x64]

v_add_f16 v5.l, exec_lo, v2.l
// GFX13: v_add_f16_e32 v5.l, exec_lo, v2.l       ; encoding: [0x7e,0x04,0x0a,0x64]

v_add_f16 v5.l, exec_hi, v2.l
// GFX13: v_add_f16_e32 v5.l, exec_hi, v2.l       ; encoding: [0x7f,0x04,0x0a,0x64]

v_add_f16 v5.l, null, v2.l
// GFX13: v_add_f16_e32 v5.l, null, v2.l          ; encoding: [0x7c,0x04,0x0a,0x64]

v_add_f16 v5.l, -1, v2.l
// GFX13: v_add_f16_e32 v5.l, -1, v2.l            ; encoding: [0xc1,0x04,0x0a,0x64]

v_add_f16 v5.l, 0.5, v2.l
// GFX13: v_add_f16_e32 v5.l, 0.5, v2.l           ; encoding: [0xf0,0x04,0x0a,0x64]

v_add_f16 v5.l, src_scc, v2.l
// GFX13: v_add_f16_e32 v5.l, src_scc, v2.l       ; encoding: [0xfd,0x04,0x0a,0x64]

v_add_f16 v127.l, 0xfe0b, v127.l
// GFX13: v_add_f16_e32 v127.l, 0xfe0b, v127.l    ; encoding: [0xff,0xfe,0xfe,0x64,0x0b,0xfe,0x00,0x00]

v_add_f32 v5, v1, v2
// GFX13: v_add_f32_e32 v5, v1, v2                ; encoding: [0x01,0x05,0x0a,0x06]

v_add_f32 v5, v255, v2
// GFX13: v_add_f32_e32 v5, v255, v2              ; encoding: [0xff,0x05,0x0a,0x06]

v_add_f32 v5, s1, v2
// GFX13: v_add_f32_e32 v5, s1, v2                ; encoding: [0x01,0x04,0x0a,0x06]

v_add_f32 v5, s105, v2
// GFX13: v_add_f32_e32 v5, s105, v2              ; encoding: [0x69,0x04,0x0a,0x06]

v_add_f32 v5, vcc_lo, v2
// GFX13: v_add_f32_e32 v5, vcc_lo, v2            ; encoding: [0x6a,0x04,0x0a,0x06]

v_add_f32 v5, vcc_hi, v2
// GFX13: v_add_f32_e32 v5, vcc_hi, v2            ; encoding: [0x6b,0x04,0x0a,0x06]

v_add_f32 v5, ttmp15, v2
// GFX13: v_add_f32_e32 v5, ttmp15, v2            ; encoding: [0x7b,0x04,0x0a,0x06]

v_add_f32 v5, m0, v2
// GFX13: v_add_f32_e32 v5, m0, v2                ; encoding: [0x7d,0x04,0x0a,0x06]

v_add_f32 v5, exec_lo, v2
// GFX13: v_add_f32_e32 v5, exec_lo, v2           ; encoding: [0x7e,0x04,0x0a,0x06]

v_add_f32 v5, exec_hi, v2
// GFX13: v_add_f32_e32 v5, exec_hi, v2           ; encoding: [0x7f,0x04,0x0a,0x06]

v_add_f32 v5, null, v2
// GFX13: v_add_f32_e32 v5, null, v2              ; encoding: [0x7c,0x04,0x0a,0x06]

v_add_f32 v5, -1, v2
// GFX13: v_add_f32_e32 v5, -1, v2                ; encoding: [0xc1,0x04,0x0a,0x06]

v_add_f32 v5, 0.5, v2
// GFX13: v_add_f32_e32 v5, 0.5, v2               ; encoding: [0xf0,0x04,0x0a,0x06]

v_add_f32 v5, src_scc, v2
// GFX13: v_add_f32_e32 v5, src_scc, v2           ; encoding: [0xfd,0x04,0x0a,0x06]

v_add_f32 v255, 0xaf123456, v255
// GFX13: v_add_f32_e32 v255, 0xaf123456, v255    ; encoding: [0xff,0xfe,0xff,0x07,0x56,0x34,0x12,0xaf]

v_add_f64 v[5:6], v[1:2], v[3:4]
// GFX13: v_add_f64_e32 v[5:6], v[1:2], v[3:4]    ; encoding: [0x01,0x07,0x0a,0x04]

v_add_f64 v[5:6], v[254:255], v[2:3]
// GFX13: v_add_f64_e32 v[5:6], v[254:255], v[2:3] ; encoding: [0xfe,0x05,0x0a,0x04]

v_add_f64 v[5:6], s[0:1], v[2:3]
// GFX13: v_add_f64_e32 v[5:6], s[0:1], v[2:3]    ; encoding: [0x00,0x04,0x0a,0x04]

v_add_f64 v[5:6], s[104:105], v[2:3]
// GFX13: v_add_f64_e32 v[5:6], s[104:105], v[2:3] ; encoding: [0x68,0x04,0x0a,0x04]

v_add_f64 v[5:6], vcc, v[2:3]
// GFX13: v_add_f64_e32 v[5:6], vcc, v[2:3]       ; encoding: [0x6a,0x04,0x0a,0x04]

v_add_f64 v[5:6], ttmp[14:15], v[2:3]
// GFX13: v_add_f64_e32 v[5:6], ttmp[14:15], v[2:3] ; encoding: [0x7a,0x04,0x0a,0x04]

v_add_f64 v[5:6], exec, v[2:3]
// GFX13: v_add_f64_e32 v[5:6], exec, v[2:3]      ; encoding: [0x7e,0x04,0x0a,0x04]

v_add_f64 v[5:6], null, v[2:3]
// GFX13: v_add_f64_e32 v[5:6], null, v[2:3]      ; encoding: [0x7c,0x04,0x0a,0x04]

v_add_f64 v[5:6], -1, v[2:3]
// GFX13: v_add_f64_e32 v[5:6], -1, v[2:3]        ; encoding: [0xc1,0x04,0x0a,0x04]

v_add_f64 v[5:6], 0.5, v[2:3]
// GFX13: v_add_f64_e32 v[5:6], 0.5, v[2:3]       ; encoding: [0xf0,0x04,0x0a,0x04]

v_add_f64 v[5:6], src_scc, v[2:3]
// GFX13: v_add_f64_e32 v[5:6], src_scc, v[2:3]   ; encoding: [0xfd,0x04,0x0a,0x04]

v_add_f64 v[254:255], 0xaf123456, v[254:255]
// GFX13: v_add_f64_e32 v[254:255], 0xaf123456, v[254:255] ; encoding: [0xff,0xfc,0xfd,0x05,0x56,0x34,0x12,0xaf]

v_add_f64 v[254:255], 0x10abcdef12345678, v[254:255]
// GFX13: v_add_f64_e32 v[254:255], 0x10abcdef12345678, v[254:255] ; encoding: [0xfe,0xfc,0xfd,0x05,0x78,0x56,0x34,0x12,0xef,0xcd,0xab,0x10]

v_add_nc_u32 v5, v1, v2
// GFX13: v_add_nc_u32_e32 v5, v1, v2             ; encoding: [0x01,0x05,0x0a,0x4a]

v_add_nc_u32 v5, v255, v2
// GFX13: v_add_nc_u32_e32 v5, v255, v2           ; encoding: [0xff,0x05,0x0a,0x4a]

v_add_nc_u32 v5, s1, v2
// GFX13: v_add_nc_u32_e32 v5, s1, v2             ; encoding: [0x01,0x04,0x0a,0x4a]

v_add_nc_u32 v5, s105, v2
// GFX13: v_add_nc_u32_e32 v5, s105, v2           ; encoding: [0x69,0x04,0x0a,0x4a]

v_add_nc_u32 v5, vcc_lo, v2
// GFX13: v_add_nc_u32_e32 v5, vcc_lo, v2         ; encoding: [0x6a,0x04,0x0a,0x4a]

v_add_nc_u32 v5, vcc_hi, v2
// GFX13: v_add_nc_u32_e32 v5, vcc_hi, v2         ; encoding: [0x6b,0x04,0x0a,0x4a]

v_add_nc_u32 v5, ttmp15, v2
// GFX13: v_add_nc_u32_e32 v5, ttmp15, v2         ; encoding: [0x7b,0x04,0x0a,0x4a]

v_add_nc_u32 v5, m0, v2
// GFX13: v_add_nc_u32_e32 v5, m0, v2             ; encoding: [0x7d,0x04,0x0a,0x4a]

v_add_nc_u32 v5, exec_lo, v2
// GFX13: v_add_nc_u32_e32 v5, exec_lo, v2        ; encoding: [0x7e,0x04,0x0a,0x4a]

v_add_nc_u32 v5, exec_hi, v2
// GFX13: v_add_nc_u32_e32 v5, exec_hi, v2        ; encoding: [0x7f,0x04,0x0a,0x4a]

v_add_nc_u32 v5, null, v2
// GFX13: v_add_nc_u32_e32 v5, null, v2           ; encoding: [0x7c,0x04,0x0a,0x4a]

v_add_nc_u32 v5, -1, v2
// GFX13: v_add_nc_u32_e32 v5, -1, v2             ; encoding: [0xc1,0x04,0x0a,0x4a]

v_add_nc_u32 v5, 0.5, v2
// GFX13: v_add_nc_u32_e32 v5, 0.5, v2            ; encoding: [0xf0,0x04,0x0a,0x4a]

v_add_nc_u32 v5, src_scc, v2
// GFX13: v_add_nc_u32_e32 v5, src_scc, v2        ; encoding: [0xfd,0x04,0x0a,0x4a]

v_add_nc_u32 v255, 0xaf123456, v255
// GFX13: v_add_nc_u32_e32 v255, 0xaf123456, v255 ; encoding: [0xff,0xfe,0xff,0x4b,0x56,0x34,0x12,0xaf]

v_and_b32 v5, v1, v2
// GFX13: v_and_b32_e32 v5, v1, v2                ; encoding: [0x01,0x05,0x0a,0x36]

v_and_b32 v5, v255, v2
// GFX13: v_and_b32_e32 v5, v255, v2              ; encoding: [0xff,0x05,0x0a,0x36]

v_and_b32 v5, s1, v2
// GFX13: v_and_b32_e32 v5, s1, v2                ; encoding: [0x01,0x04,0x0a,0x36]

v_and_b32 v5, s105, v2
// GFX13: v_and_b32_e32 v5, s105, v2              ; encoding: [0x69,0x04,0x0a,0x36]

v_and_b32 v5, vcc_lo, v2
// GFX13: v_and_b32_e32 v5, vcc_lo, v2            ; encoding: [0x6a,0x04,0x0a,0x36]

v_and_b32 v5, vcc_hi, v2
// GFX13: v_and_b32_e32 v5, vcc_hi, v2            ; encoding: [0x6b,0x04,0x0a,0x36]

v_and_b32 v5, ttmp15, v2
// GFX13: v_and_b32_e32 v5, ttmp15, v2            ; encoding: [0x7b,0x04,0x0a,0x36]

v_and_b32 v5, m0, v2
// GFX13: v_and_b32_e32 v5, m0, v2                ; encoding: [0x7d,0x04,0x0a,0x36]

v_and_b32 v5, exec_lo, v2
// GFX13: v_and_b32_e32 v5, exec_lo, v2           ; encoding: [0x7e,0x04,0x0a,0x36]

v_and_b32 v5, exec_hi, v2
// GFX13: v_and_b32_e32 v5, exec_hi, v2           ; encoding: [0x7f,0x04,0x0a,0x36]

v_and_b32 v5, null, v2
// GFX13: v_and_b32_e32 v5, null, v2              ; encoding: [0x7c,0x04,0x0a,0x36]

v_and_b32 v5, -1, v2
// GFX13: v_and_b32_e32 v5, -1, v2                ; encoding: [0xc1,0x04,0x0a,0x36]

v_and_b32 v5, 0.5, v2
// GFX13: v_and_b32_e32 v5, 0.5, v2               ; encoding: [0xf0,0x04,0x0a,0x36]

v_and_b32 v5, src_scc, v2
// GFX13: v_and_b32_e32 v5, src_scc, v2           ; encoding: [0xfd,0x04,0x0a,0x36]

v_and_b32 v255, 0xaf123456, v255
// GFX13: v_and_b32_e32 v255, 0xaf123456, v255    ; encoding: [0xff,0xfe,0xff,0x37,0x56,0x34,0x12,0xaf]

v_ashrrev_i32 v5, v1, v2
// GFX13: v_ashrrev_i32_e32 v5, v1, v2            ; encoding: [0x01,0x05,0x0a,0x30]

v_ashrrev_i32 v5, v255, v2
// GFX13: v_ashrrev_i32_e32 v5, v255, v2          ; encoding: [0xff,0x05,0x0a,0x30]

v_ashrrev_i32 v5, s1, v2
// GFX13: v_ashrrev_i32_e32 v5, s1, v2            ; encoding: [0x01,0x04,0x0a,0x30]

v_ashrrev_i32 v5, s105, v2
// GFX13: v_ashrrev_i32_e32 v5, s105, v2          ; encoding: [0x69,0x04,0x0a,0x30]

v_ashrrev_i32 v5, vcc_lo, v2
// GFX13: v_ashrrev_i32_e32 v5, vcc_lo, v2        ; encoding: [0x6a,0x04,0x0a,0x30]

v_ashrrev_i32 v5, vcc_hi, v2
// GFX13: v_ashrrev_i32_e32 v5, vcc_hi, v2        ; encoding: [0x6b,0x04,0x0a,0x30]

v_ashrrev_i32 v5, ttmp15, v2
// GFX13: v_ashrrev_i32_e32 v5, ttmp15, v2        ; encoding: [0x7b,0x04,0x0a,0x30]

v_ashrrev_i32 v5, m0, v2
// GFX13: v_ashrrev_i32_e32 v5, m0, v2            ; encoding: [0x7d,0x04,0x0a,0x30]

v_ashrrev_i32 v5, exec_lo, v2
// GFX13: v_ashrrev_i32_e32 v5, exec_lo, v2       ; encoding: [0x7e,0x04,0x0a,0x30]

v_ashrrev_i32 v5, exec_hi, v2
// GFX13: v_ashrrev_i32_e32 v5, exec_hi, v2       ; encoding: [0x7f,0x04,0x0a,0x30]

v_ashrrev_i32 v5, null, v2
// GFX13: v_ashrrev_i32_e32 v5, null, v2          ; encoding: [0x7c,0x04,0x0a,0x30]

v_ashrrev_i32 v5, -1, v2
// GFX13: v_ashrrev_i32_e32 v5, -1, v2            ; encoding: [0xc1,0x04,0x0a,0x30]

v_ashrrev_i32 v5, 0.5, v2
// GFX13: v_ashrrev_i32_e32 v5, 0.5, v2           ; encoding: [0xf0,0x04,0x0a,0x30]

v_ashrrev_i32 v5, src_scc, v2
// GFX13: v_ashrrev_i32_e32 v5, src_scc, v2       ; encoding: [0xfd,0x04,0x0a,0x30]

v_ashrrev_i32 v255, 0xaf123456, v255
// GFX13: v_ashrrev_i32_e32 v255, 0xaf123456, v255 ; encoding: [0xff,0xfe,0xff,0x31,0x56,0x34,0x12,0xaf]

v_cndmask_b32 v5, v1, v2, vcc_lo
// W32: v_cndmask_b32_e32 v5, v1, v2, vcc_lo    ; encoding: [0x01,0x05,0x0a,0x02]
// W64-ERR: :[[@LINE-2]]:1: error: operands are not valid for this GPU or mode

v_cndmask_b32 v5, v255, v2, vcc_lo
// W32: v_cndmask_b32_e32 v5, v255, v2, vcc_lo  ; encoding: [0xff,0x05,0x0a,0x02]
// W64-ERR: :[[@LINE-2]]:1: error: operands are not valid for this GPU or mode

v_cndmask_b32 v5, s1, v2, vcc_lo
// W32: v_cndmask_b32_e32 v5, s1, v2, vcc_lo    ; encoding: [0x01,0x04,0x0a,0x02]
// W64-ERR: :[[@LINE-2]]:1: error: operands are not valid for this GPU or mode

v_cndmask_b32 v5, s105, v2, vcc_lo
// W32: v_cndmask_b32_e32 v5, s105, v2, vcc_lo  ; encoding: [0x69,0x04,0x0a,0x02]
// W64-ERR: :[[@LINE-2]]:1: error: operands are not valid for this GPU or mode

v_cndmask_b32 v5, vcc_lo, v2, vcc_lo
// W32: v_cndmask_b32_e32 v5, vcc_lo, v2, vcc_lo ; encoding: [0x6a,0x04,0x0a,0x02]
// W64-ERR: :[[@LINE-2]]:1: error: operands are not valid for this GPU or mode

v_cndmask_b32 v5, vcc_hi, v2, vcc_lo
// W32: v_cndmask_b32_e32 v5, vcc_hi, v2, vcc_lo ; encoding: [0x6b,0x04,0x0a,0x02]
// W64-ERR: :[[@LINE-2]]:1: error: operands are not valid for this GPU or mode

v_cndmask_b32 v5, ttmp15, v2, vcc_lo
// W32: v_cndmask_b32_e32 v5, ttmp15, v2, vcc_lo ; encoding: [0x7b,0x04,0x0a,0x02]
// W64-ERR: :[[@LINE-2]]:1: error: operands are not valid for this GPU or mode

v_cndmask_b32 v5, m0, v2, vcc_lo
// W32: v_cndmask_b32_e32 v5, m0, v2, vcc_lo    ; encoding: [0x7d,0x04,0x0a,0x02]
// W64-ERR: :[[@LINE-2]]:1: error: operands are not valid for this GPU or mode

v_cndmask_b32 v5, exec_lo, v2, vcc_lo
// W32: v_cndmask_b32_e32 v5, exec_lo, v2, vcc_lo ; encoding: [0x7e,0x04,0x0a,0x02]
// W64-ERR: :[[@LINE-2]]:1: error: operands are not valid for this GPU or mode

v_cndmask_b32 v5, exec_hi, v2, vcc_lo
// W32: v_cndmask_b32_e32 v5, exec_hi, v2, vcc_lo ; encoding: [0x7f,0x04,0x0a,0x02]
// W64-ERR: :[[@LINE-2]]:1: error: operands are not valid for this GPU or mode

v_cndmask_b32 v5, null, v2, vcc_lo
// W32: v_cndmask_b32_e32 v5, null, v2, vcc_lo  ; encoding: [0x7c,0x04,0x0a,0x02]
// W64-ERR: :[[@LINE-2]]:1: error: operands are not valid for this GPU or mode

v_cndmask_b32 v5, -1, v2, vcc_lo
// W32: v_cndmask_b32_e32 v5, -1, v2, vcc_lo    ; encoding: [0xc1,0x04,0x0a,0x02]
// W64-ERR: :[[@LINE-2]]:1: error: operands are not valid for this GPU or mode

v_cndmask_b32 v5, 0.5, v2, vcc_lo
// W32: v_cndmask_b32_e32 v5, 0.5, v2, vcc_lo   ; encoding: [0xf0,0x04,0x0a,0x02]
// W64-ERR: :[[@LINE-2]]:1: error: operands are not valid for this GPU or mode

v_cndmask_b32 v5, src_scc, v2, vcc_lo
// W32: v_cndmask_b32_e32 v5, src_scc, v2, vcc_lo ; encoding: [0xfd,0x04,0x0a,0x02]
// W64-ERR: :[[@LINE-2]]:1: error: operands are not valid for this GPU or mode

v_cndmask_b32 v255, 0xaf123456, v255, vcc_lo
// W32: v_cndmask_b32_e32 v255, 0xaf123456, v255, vcc_lo ; encoding: [0xff,0xfe,0xff,0x03,0x56,0x34,0x12,0xaf]
// W64-ERR: :[[@LINE-2]]:1: error: operands are not valid for this GPU or mode

v_cndmask_b32 v5, v1, v2, vcc
// W32-ERR: :[[@LINE-1]]:1: error: operands are not valid for this GPU or mode
// W64: v_cndmask_b32_e32 v5, v1, v2, vcc       ; encoding: [0x01,0x05,0x0a,0x02]

v_cndmask_b32 v5, v255, v2, vcc
// W32-ERR: :[[@LINE-1]]:1: error: operands are not valid for this GPU or mode
// W64: v_cndmask_b32_e32 v5, v255, v2, vcc     ; encoding: [0xff,0x05,0x0a,0x02]

v_cndmask_b32 v5, s1, v2, vcc
// W32-ERR: :[[@LINE-1]]:1: error: operands are not valid for this GPU or mode
// W64: v_cndmask_b32_e32 v5, s1, v2, vcc       ; encoding: [0x01,0x04,0x0a,0x02]

v_cndmask_b32 v5, s105, v2, vcc
// W32-ERR: :[[@LINE-1]]:1: error: operands are not valid for this GPU or mode
// W64: v_cndmask_b32_e32 v5, s105, v2, vcc     ; encoding: [0x69,0x04,0x0a,0x02]

v_cndmask_b32 v5, vcc_lo, v2, vcc
// W32-ERR: :[[@LINE-1]]:1: error: operands are not valid for this GPU or mode
// W64: v_cndmask_b32_e32 v5, vcc_lo, v2, vcc   ; encoding: [0x6a,0x04,0x0a,0x02]

v_cndmask_b32 v5, vcc_hi, v2, vcc
// W32-ERR: :[[@LINE-1]]:1: error: operands are not valid for this GPU or mode
// W64: v_cndmask_b32_e32 v5, vcc_hi, v2, vcc   ; encoding: [0x6b,0x04,0x0a,0x02]

v_cndmask_b32 v5, ttmp15, v2, vcc
// W32-ERR: :[[@LINE-1]]:1: error: operands are not valid for this GPU or mode
// W64: v_cndmask_b32_e32 v5, ttmp15, v2, vcc   ; encoding: [0x7b,0x04,0x0a,0x02]

v_cndmask_b32 v5, m0, v2, vcc
// W32-ERR: :[[@LINE-1]]:1: error: operands are not valid for this GPU or mode
// W64: v_cndmask_b32_e32 v5, m0, v2, vcc       ; encoding: [0x7d,0x04,0x0a,0x02]

v_cndmask_b32 v5, exec_lo, v2, vcc
// W32-ERR: :[[@LINE-1]]:1: error: operands are not valid for this GPU or mode
// W64: v_cndmask_b32_e32 v5, exec_lo, v2, vcc  ; encoding: [0x7e,0x04,0x0a,0x02]

v_cndmask_b32 v5, exec_hi, v2, vcc
// W32-ERR: :[[@LINE-1]]:1: error: operands are not valid for this GPU or mode
// W64: v_cndmask_b32_e32 v5, exec_hi, v2, vcc  ; encoding: [0x7f,0x04,0x0a,0x02]

v_cndmask_b32 v5, null, v2, vcc
// W32-ERR: :[[@LINE-1]]:1: error: operands are not valid for this GPU or mode
// W64: v_cndmask_b32_e32 v5, null, v2, vcc     ; encoding: [0x7c,0x04,0x0a,0x02]

v_cndmask_b32 v5, -1, v2, vcc
// W32-ERR: :[[@LINE-1]]:1: error: operands are not valid for this GPU or mode
// W64: v_cndmask_b32_e32 v5, -1, v2, vcc       ; encoding: [0xc1,0x04,0x0a,0x02]

v_cndmask_b32 v5, 0.5, v2, vcc
// W32-ERR: :[[@LINE-1]]:1: error: operands are not valid for this GPU or mode
// W64: v_cndmask_b32_e32 v5, 0.5, v2, vcc      ; encoding: [0xf0,0x04,0x0a,0x02]

v_cndmask_b32 v5, src_scc, v2, vcc
// W32-ERR: :[[@LINE-1]]:1: error: operands are not valid for this GPU or mode
// W64: v_cndmask_b32_e32 v5, src_scc, v2, vcc  ; encoding: [0xfd,0x04,0x0a,0x02]

v_cndmask_b32 v255, 0xaf123456, v255, vcc
// W32-ERR: :[[@LINE-1]]:1: error: operands are not valid for this GPU or mode
// W64: v_cndmask_b32_e32 v255, 0xaf123456, v255, vcc ; encoding: [0xff,0xfe,0xff,0x03,0x56,0x34,0x12,0xaf]

v_cvt_pk_rtz_f16_f32 v5, v1, v2
// GFX13: v_cvt_pk_rtz_f16_f32_e32 v5, v1, v2     ; encoding: [0x01,0x05,0x0a,0x5e]

v_cvt_pk_rtz_f16_f32 v5, v255, v2
// GFX13: v_cvt_pk_rtz_f16_f32_e32 v5, v255, v2   ; encoding: [0xff,0x05,0x0a,0x5e]

v_cvt_pk_rtz_f16_f32 v5, s1, v2
// GFX13: v_cvt_pk_rtz_f16_f32_e32 v5, s1, v2     ; encoding: [0x01,0x04,0x0a,0x5e]

v_cvt_pk_rtz_f16_f32 v5, s105, v2
// GFX13: v_cvt_pk_rtz_f16_f32_e32 v5, s105, v2   ; encoding: [0x69,0x04,0x0a,0x5e]

v_cvt_pk_rtz_f16_f32 v5, vcc_lo, v2
// GFX13: v_cvt_pk_rtz_f16_f32_e32 v5, vcc_lo, v2 ; encoding: [0x6a,0x04,0x0a,0x5e]

v_cvt_pk_rtz_f16_f32 v5, vcc_hi, v2
// GFX13: v_cvt_pk_rtz_f16_f32_e32 v5, vcc_hi, v2 ; encoding: [0x6b,0x04,0x0a,0x5e]

v_cvt_pk_rtz_f16_f32 v5, ttmp15, v2
// GFX13: v_cvt_pk_rtz_f16_f32_e32 v5, ttmp15, v2 ; encoding: [0x7b,0x04,0x0a,0x5e]

v_cvt_pk_rtz_f16_f32 v5, m0, v2
// GFX13: v_cvt_pk_rtz_f16_f32_e32 v5, m0, v2     ; encoding: [0x7d,0x04,0x0a,0x5e]

v_cvt_pk_rtz_f16_f32 v5, exec_lo, v2
// GFX13: v_cvt_pk_rtz_f16_f32_e32 v5, exec_lo, v2 ; encoding: [0x7e,0x04,0x0a,0x5e]

v_cvt_pk_rtz_f16_f32 v5, exec_hi, v2
// GFX13: v_cvt_pk_rtz_f16_f32_e32 v5, exec_hi, v2 ; encoding: [0x7f,0x04,0x0a,0x5e]

v_cvt_pk_rtz_f16_f32 v5, null, v2
// GFX13: v_cvt_pk_rtz_f16_f32_e32 v5, null, v2   ; encoding: [0x7c,0x04,0x0a,0x5e]

v_cvt_pk_rtz_f16_f32 v5, -1, v2
// GFX13: v_cvt_pk_rtz_f16_f32_e32 v5, -1, v2     ; encoding: [0xc1,0x04,0x0a,0x5e]

v_cvt_pk_rtz_f16_f32 v5, 0.5, v2
// GFX13: v_cvt_pk_rtz_f16_f32_e32 v5, 0.5, v2    ; encoding: [0xf0,0x04,0x0a,0x5e]

v_cvt_pk_rtz_f16_f32 v5, src_scc, v2
// GFX13: v_cvt_pk_rtz_f16_f32_e32 v5, src_scc, v2 ; encoding: [0xfd,0x04,0x0a,0x5e]

v_cvt_pk_rtz_f16_f32 v255, 0xaf123456, v255
// GFX13: v_cvt_pk_rtz_f16_f32_e32 v255, 0xaf123456, v255 ; encoding: [0xff,0xfe,0xff,0x5f,0x56,0x34,0x12,0xaf]

v_cvt_pkrtz_f16_f32 v5, v1, v2
// GFX13: v_cvt_pk_rtz_f16_f32_e32 v5, v1, v2     ; encoding: [0x01,0x05,0x0a,0x5e]

v_cvt_pkrtz_f16_f32 v5, v255, v2
// GFX13: v_cvt_pk_rtz_f16_f32_e32 v5, v255, v2   ; encoding: [0xff,0x05,0x0a,0x5e]

v_cvt_pkrtz_f16_f32 v5, s1, v2
// GFX13: v_cvt_pk_rtz_f16_f32_e32 v5, s1, v2     ; encoding: [0x01,0x04,0x0a,0x5e]

v_cvt_pkrtz_f16_f32 v5, s105, v2
// GFX13: v_cvt_pk_rtz_f16_f32_e32 v5, s105, v2   ; encoding: [0x69,0x04,0x0a,0x5e]

v_cvt_pkrtz_f16_f32 v5, vcc_lo, v2
// GFX13: v_cvt_pk_rtz_f16_f32_e32 v5, vcc_lo, v2 ; encoding: [0x6a,0x04,0x0a,0x5e]

v_cvt_pkrtz_f16_f32 v5, vcc_hi, v2
// GFX13: v_cvt_pk_rtz_f16_f32_e32 v5, vcc_hi, v2 ; encoding: [0x6b,0x04,0x0a,0x5e]

v_cvt_pkrtz_f16_f32 v5, ttmp15, v2
// GFX13: v_cvt_pk_rtz_f16_f32_e32 v5, ttmp15, v2 ; encoding: [0x7b,0x04,0x0a,0x5e]

v_cvt_pkrtz_f16_f32 v5, m0, v2
// GFX13: v_cvt_pk_rtz_f16_f32_e32 v5, m0, v2     ; encoding: [0x7d,0x04,0x0a,0x5e]

v_cvt_pkrtz_f16_f32 v5, exec_lo, v2
// GFX13: v_cvt_pk_rtz_f16_f32_e32 v5, exec_lo, v2 ; encoding: [0x7e,0x04,0x0a,0x5e]

v_cvt_pkrtz_f16_f32 v5, exec_hi, v2
// GFX13: v_cvt_pk_rtz_f16_f32_e32 v5, exec_hi, v2 ; encoding: [0x7f,0x04,0x0a,0x5e]

v_cvt_pkrtz_f16_f32 v5, null, v2
// GFX13: v_cvt_pk_rtz_f16_f32_e32 v5, null, v2   ; encoding: [0x7c,0x04,0x0a,0x5e]

v_cvt_pkrtz_f16_f32 v5, -1, v2
// GFX13: v_cvt_pk_rtz_f16_f32_e32 v5, -1, v2     ; encoding: [0xc1,0x04,0x0a,0x5e]

v_cvt_pkrtz_f16_f32 v5, 0.5, v2
// GFX13: v_cvt_pk_rtz_f16_f32_e32 v5, 0.5, v2    ; encoding: [0xf0,0x04,0x0a,0x5e]

v_cvt_pkrtz_f16_f32 v5, src_scc, v2
// GFX13: v_cvt_pk_rtz_f16_f32_e32 v5, src_scc, v2 ; encoding: [0xfd,0x04,0x0a,0x5e]

v_cvt_pkrtz_f16_f32 v255, 0xaf123456, v255
// GFX13: v_cvt_pk_rtz_f16_f32_e32 v255, 0xaf123456, v255 ; encoding: [0xff,0xfe,0xff,0x5f,0x56,0x34,0x12,0xaf]

v_fmaak_f16 v5.l, v1.l, v2.l, 0xfe0b
// GFX13: v_fmaak_f16 v5.l, v1.l, v2.l, 0xfe0b    ; encoding: [0x01,0x05,0x0a,0x70,0x0b,0xfe,0x00,0x00]

v_fmaak_f16 v5.l, v127.l, v2.l, 0xfe0b
// GFX13: v_fmaak_f16 v5.l, v127.l, v2.l, 0xfe0b  ; encoding: [0x7f,0x05,0x0a,0x70,0x0b,0xfe,0x00,0x00]

v_fmaak_f16 v5.l, s1, v2.l, 0xfe0b
// GFX13: v_fmaak_f16 v5.l, s1, v2.l, 0xfe0b      ; encoding: [0x01,0x04,0x0a,0x70,0x0b,0xfe,0x00,0x00]

v_fmaak_f16 v5.l, s105, v2.l, 0xfe0b
// GFX13: v_fmaak_f16 v5.l, s105, v2.l, 0xfe0b    ; encoding: [0x69,0x04,0x0a,0x70,0x0b,0xfe,0x00,0x00]

v_fmaak_f16 v5.l, vcc_lo, v2.l, 0xfe0b
// GFX13: v_fmaak_f16 v5.l, vcc_lo, v2.l, 0xfe0b  ; encoding: [0x6a,0x04,0x0a,0x70,0x0b,0xfe,0x00,0x00]

v_fmaak_f16 v5.l, vcc_hi, v2.l, 0xfe0b
// GFX13: v_fmaak_f16 v5.l, vcc_hi, v2.l, 0xfe0b  ; encoding: [0x6b,0x04,0x0a,0x70,0x0b,0xfe,0x00,0x00]

v_fmaak_f16 v5.l, ttmp15, v2.l, 0xfe0b
// GFX13: v_fmaak_f16 v5.l, ttmp15, v2.l, 0xfe0b  ; encoding: [0x7b,0x04,0x0a,0x70,0x0b,0xfe,0x00,0x00]

v_fmaak_f16 v5.l, m0, v2.l, 0xfe0b
// GFX13: v_fmaak_f16 v5.l, m0, v2.l, 0xfe0b      ; encoding: [0x7d,0x04,0x0a,0x70,0x0b,0xfe,0x00,0x00]

v_fmaak_f16 v5.l, exec_lo, v2.l, 0xfe0b
// GFX13: v_fmaak_f16 v5.l, exec_lo, v2.l, 0xfe0b ; encoding: [0x7e,0x04,0x0a,0x70,0x0b,0xfe,0x00,0x00]

v_fmaak_f16 v5.l, exec_hi, v2.l, 0xfe0b
// GFX13: v_fmaak_f16 v5.l, exec_hi, v2.l, 0xfe0b ; encoding: [0x7f,0x04,0x0a,0x70,0x0b,0xfe,0x00,0x00]

v_fmaak_f16 v5.l, null, v2.l, 0xfe0b
// GFX13: v_fmaak_f16 v5.l, null, v2.l, 0xfe0b    ; encoding: [0x7c,0x04,0x0a,0x70,0x0b,0xfe,0x00,0x00]

v_fmaak_f16 v5.l, -1, v2.l, 0xfe0b
// GFX13: v_fmaak_f16 v5.l, -1, v2.l, 0xfe0b      ; encoding: [0xc1,0x04,0x0a,0x70,0x0b,0xfe,0x00,0x00]

v_fmaak_f16 v5.l, 0.5, v2.l, 0xfe0b
// GFX13: v_fmaak_f16 v5.l, 0.5, v2.l, 0xfe0b     ; encoding: [0xf0,0x04,0x0a,0x70,0x0b,0xfe,0x00,0x00]

v_fmaak_f16 v5.l, src_scc, v2.l, 0xfe0b
// GFX13: v_fmaak_f16 v5.l, src_scc, v2.l, 0xfe0b ; encoding: [0xfd,0x04,0x0a,0x70,0x0b,0xfe,0x00,0x00]

v_fmaak_f16 v127.l, 0xfe0b, v127.l, 0xfe0b
// GFX13: v_fmaak_f16 v127.l, 0xfe0b, v127.l, 0xfe0b ; encoding: [0xff,0xfe,0xfe,0x70,0x0b,0xfe,0x00,0x00]

v_fmaak_f32 v5, v1, v2, 0xaf123456
// GFX13: v_fmaak_f32 v5, v1, v2, 0xaf123456      ; encoding: [0x01,0x05,0x0a,0x5a,0x56,0x34,0x12,0xaf]

v_fmaak_f32 v5, v255, v2, 0xaf123456
// GFX13: v_fmaak_f32 v5, v255, v2, 0xaf123456    ; encoding: [0xff,0x05,0x0a,0x5a,0x56,0x34,0x12,0xaf]

v_fmaak_f32 v5, s1, v2, 0xaf123456
// GFX13: v_fmaak_f32 v5, s1, v2, 0xaf123456      ; encoding: [0x01,0x04,0x0a,0x5a,0x56,0x34,0x12,0xaf]

v_fmaak_f32 v5, s105, v2, 0xaf123456
// GFX13: v_fmaak_f32 v5, s105, v2, 0xaf123456    ; encoding: [0x69,0x04,0x0a,0x5a,0x56,0x34,0x12,0xaf]

v_fmaak_f32 v5, vcc_lo, v2, 0xaf123456
// GFX13: v_fmaak_f32 v5, vcc_lo, v2, 0xaf123456  ; encoding: [0x6a,0x04,0x0a,0x5a,0x56,0x34,0x12,0xaf]

v_fmaak_f32 v5, vcc_hi, v2, 0xaf123456
// GFX13: v_fmaak_f32 v5, vcc_hi, v2, 0xaf123456  ; encoding: [0x6b,0x04,0x0a,0x5a,0x56,0x34,0x12,0xaf]

v_fmaak_f32 v5, ttmp15, v2, 0xaf123456
// GFX13: v_fmaak_f32 v5, ttmp15, v2, 0xaf123456  ; encoding: [0x7b,0x04,0x0a,0x5a,0x56,0x34,0x12,0xaf]

v_fmaak_f32 v5, m0, v2, 0xaf123456
// GFX13: v_fmaak_f32 v5, m0, v2, 0xaf123456      ; encoding: [0x7d,0x04,0x0a,0x5a,0x56,0x34,0x12,0xaf]

v_fmaak_f32 v5, exec_lo, v2, 0xaf123456
// GFX13: v_fmaak_f32 v5, exec_lo, v2, 0xaf123456 ; encoding: [0x7e,0x04,0x0a,0x5a,0x56,0x34,0x12,0xaf]

v_fmaak_f32 v5, exec_hi, v2, 0xaf123456
// GFX13: v_fmaak_f32 v5, exec_hi, v2, 0xaf123456 ; encoding: [0x7f,0x04,0x0a,0x5a,0x56,0x34,0x12,0xaf]

v_fmaak_f32 v5, null, v2, 0xaf123456
// GFX13: v_fmaak_f32 v5, null, v2, 0xaf123456    ; encoding: [0x7c,0x04,0x0a,0x5a,0x56,0x34,0x12,0xaf]

v_fmaak_f32 v5, -1, v2, 0xaf123456
// GFX13: v_fmaak_f32 v5, -1, v2, 0xaf123456      ; encoding: [0xc1,0x04,0x0a,0x5a,0x56,0x34,0x12,0xaf]

v_fmaak_f32 v5, 0.5, v2, 0xaf123456
// GFX13: v_fmaak_f32 v5, 0.5, v2, 0xaf123456     ; encoding: [0xf0,0x04,0x0a,0x5a,0x56,0x34,0x12,0xaf]

v_fmaak_f32 v5, src_scc, v2, 0xaf123456
// GFX13: v_fmaak_f32 v5, src_scc, v2, 0xaf123456 ; encoding: [0xfd,0x04,0x0a,0x5a,0x56,0x34,0x12,0xaf]

v_fmaak_f32 v255, 0xaf123456, v255, 0xaf123456
// GFX13: v_fmaak_f32 v255, 0xaf123456, v255, 0xaf123456 ; encoding: [0xff,0xfe,0xff,0x5b,0x56,0x34,0x12,0xaf]

v_fmaak_f64 v[254:255], 0x405ec000, v[254:255], 0x405ec000
// GFX13: v_fmaak_f64 v[254:255], 0x405ec000, v[254:255], 0x405ec000 ; encoding: [0xfe,0xfc,0xfd,0x43,0x00,0x00,0x00,0x00,0x00,0xc0,0x5e,0x40]

v_fmaak_f64 v[254:255], lit64(0x405ec00000000000), v[254:255], lit64(0x405ec00000000000)
// GFX13: v_fmaak_f64 v[254:255], lit64(0x405ec00000000000), v[254:255], lit64(0x405ec00000000000) ; encoding: [0xfe,0xfc,0xfd,0x43,0x00,0x00,0x00,0x00,0x00,0xc0,0x5e,0x40]

v_fmaak_f64 v[254:255], lit64(0x405ec00012345678), v[254:255], lit64(0x405ec00012345678)
// GFX13: v_fmaak_f64 v[254:255], lit64(0x405ec00012345678), v[254:255], lit64(0x405ec00012345678) ; encoding: [0xfe,0xfc,0xfd,0x43,0x78,0x56,0x34,0x12,0x00,0xc0,0x5e,0x40]

v_fmaak_f64 v[254:255], 123.0, v[2:3], 0x405ec000
// GFX13: v_fmaak_f64 v[254:255], 0x405ec000, v[2:3], 0x405ec000 ; encoding: [0xfe,0x04,0xfc,0x43,0x00,0x00,0x00,0x00,0x00,0xc0,0x5e,0x40]

v_fmaak_f64 v[254:255], lit64(0x405ec00012345678), v[254:255], lit64(0x405ec00012345678)
// GFX13: v_fmaak_f64 v[254:255], lit64(0x405ec00012345678), v[254:255], lit64(0x405ec00012345678) ; encoding: [0xfe,0xfc,0xfd,0x43,0x78,0x56,0x34,0x12,0x00,0xc0,0x5e,0x40]

v_fmaak_f64 v[4:5], 0x405ec66666666666, v[6:7], 123.1
// GFX13: v_fmaak_f64 v[4:5], 0x405ec66666666666, v[6:7], 0x405ec66666666666 ; encoding: [0xfe,0x0c,0x08,0x42,0x66,0x66,0x66,0x66,0x66,0xc6,0x5e,0x40]

v_fmaak_f64 v[4:5], 1.0, v[8:9], 1.0
// GFX13: v_fmaak_f64 v[4:5], 1.0, v[8:9], 0x3ff00000 ; encoding: [0xf2,0x10,0x08,0x42,0x00,0x00,0x00,0x00,0x00,0x00,0xf0,0x3f]

v_fmaak_f64 v[4:5], 123.1, v[8:9], 123.1
// GFX13: v_fmaak_f64 v[4:5], 0x405ec66666666666, v[8:9], 0x405ec66666666666 ; encoding: [0xfe,0x10,0x08,0x42,0x66,0x66,0x66,0x66,0x66,0xc6,0x5e,0x40]

v_fmaak_f64 v[4:5], 1e-320, v[6:7], 1e-320
// GFX13: v_fmaak_f64 v[4:5], lit64(0x7e8), v[6:7], lit64(0x7e8) ; encoding: [0xfe,0x0c,0x08,0x42,0xe8,0x07,0x00,0x00,0x00,0x00,0x00,0x00]

v_fmaak_f64 v[4:5], lit64(0x7e8), v[8:9], 1e-320
// GFX13: v_fmaak_f64 v[4:5], lit64(0x7e8), v[8:9], lit64(0x7e8) ; encoding: [0xfe,0x10,0x08,0x42,0xe8,0x07,0x00,0x00,0x00,0x00,0x00,0x00]

v_fmaak_f64 v[4:5], lit64(0x7e8), v[8:9], lit64(0x7e8)
// GFX13: v_fmaak_f64 v[4:5], lit64(0x7e8), v[8:9], lit64(0x7e8) ; encoding: [0xfe,0x10,0x08,0x42,0xe8,0x07,0x00,0x00,0x00,0x00,0x00,0x00]

v_fmaak_f64 v[4:5], v[2:3], v[2:3], 123.1
// GFX13: v_fmaak_f64 v[4:5], v[2:3], v[2:3], 0x405ec66666666666 ; encoding: [0x02,0x05,0x08,0x42,0x66,0x66,0x66,0x66,0x66,0xc6,0x5e,0x40]

v_fmaak_f64 v[6:7], -1, v[8:9], 0x405ec000
// GFX13: v_fmaak_f64 v[6:7], -1, v[8:9], 0x405ec000 ; encoding: [0xc1,0x10,0x0c,0x42,0x00,0x00,0x00,0x00,0x00,0xc0,0x5e,0x40]

v_fmaak_f64 v[6:7], 0.5, v[8:9], 0x405ec000
// GFX13: v_fmaak_f64 v[6:7], 0.5, v[8:9], 0x405ec000 ; encoding: [0xf0,0x10,0x0c,0x42,0x00,0x00,0x00,0x00,0x00,0xc0,0x5e,0x40]

v_fmaak_f64 v[6:7], exec, v[8:9], 0x405ec000
// GFX13: v_fmaak_f64 v[6:7], exec, v[8:9], 0x405ec000 ; encoding: [0x7e,0x10,0x0c,0x42,0x00,0x00,0x00,0x00,0x00,0xc0,0x5e,0x40]

v_fmaak_f64 v[6:7], null, v[8:9], 0x405ec000
// GFX13: v_fmaak_f64 v[6:7], null, v[8:9], 0x405ec000 ; encoding: [0x7c,0x10,0x0c,0x42,0x00,0x00,0x00,0x00,0x00,0xc0,0x5e,0x40]

v_fmaak_f64 v[6:7], s[2:3], v[8:9], 0x405ec00012345678
// GFX13: v_fmaak_f64 v[6:7], s[2:3], v[8:9], 0x405ec00012345678 ; encoding: [0x02,0x10,0x0c,0x42,0x78,0x56,0x34,0x12,0x00,0xc0,0x5e,0x40]

v_fmaak_f64 v[6:7], src_scc, v[8:9], 0x405ec000
// GFX13: v_fmaak_f64 v[6:7], src_scc, v[8:9], 0x405ec000 ; encoding: [0xfd,0x10,0x0c,0x42,0x00,0x00,0x00,0x00,0x00,0xc0,0x5e,0x40]

v_fmaak_f64 v[6:7], v[254:255], v[8:9], 0x405ec00000000000
// GFX13: v_fmaak_f64 v[6:7], v[254:255], v[8:9], 0x405ec000 ; encoding: [0xfe,0x11,0x0c,0x42,0x00,0x00,0x00,0x00,0x00,0xc0,0x5e,0x40]

v_fmaak_f64 v[6:7], v[4:5], v[8:9], 0x405ec000
// GFX13: v_fmaak_f64 v[6:7], v[4:5], v[8:9], 0x405ec000 ; encoding: [0x04,0x11,0x0c,0x42,0x00,0x00,0x00,0x00,0x00,0xc0,0x5e,0x40]

v_fmaak_f64 v[6:7], vcc, v[8:9], 0x405ec000
// GFX13: v_fmaak_f64 v[6:7], vcc, v[8:9], 0x405ec000 ; encoding: [0x6a,0x10,0x0c,0x42,0x00,0x00,0x00,0x00,0x00,0xc0,0x5e,0x40]

v_fmac_f16 v5.l, v1.l, v2.l
// GFX13: v_fmac_f16_e32 v5.l, v1.l, v2.l         ; encoding: [0x01,0x05,0x0a,0x6c]

v_fmac_f16 v5.l, v127.l, v2.l
// GFX13: v_fmac_f16_e32 v5.l, v127.l, v2.l       ; encoding: [0x7f,0x05,0x0a,0x6c]

v_fmac_f16 v5.l, s1, v2.l
// GFX13: v_fmac_f16_e32 v5.l, s1, v2.l           ; encoding: [0x01,0x04,0x0a,0x6c]

v_fmac_f16 v5.l, s105, v2.l
// GFX13: v_fmac_f16_e32 v5.l, s105, v2.l         ; encoding: [0x69,0x04,0x0a,0x6c]

v_fmac_f16 v5.l, vcc_lo, v2.l
// GFX13: v_fmac_f16_e32 v5.l, vcc_lo, v2.l       ; encoding: [0x6a,0x04,0x0a,0x6c]

v_fmac_f16 v5.l, vcc_hi, v2.l
// GFX13: v_fmac_f16_e32 v5.l, vcc_hi, v2.l       ; encoding: [0x6b,0x04,0x0a,0x6c]

v_fmac_f16 v5.l, ttmp15, v2.l
// GFX13: v_fmac_f16_e32 v5.l, ttmp15, v2.l       ; encoding: [0x7b,0x04,0x0a,0x6c]

v_fmac_f16 v5.l, m0, v2.l
// GFX13: v_fmac_f16_e32 v5.l, m0, v2.l           ; encoding: [0x7d,0x04,0x0a,0x6c]

v_fmac_f16 v5.l, exec_lo, v2.l
// GFX13: v_fmac_f16_e32 v5.l, exec_lo, v2.l      ; encoding: [0x7e,0x04,0x0a,0x6c]

v_fmac_f16 v5.l, exec_hi, v2.l
// GFX13: v_fmac_f16_e32 v5.l, exec_hi, v2.l      ; encoding: [0x7f,0x04,0x0a,0x6c]

v_fmac_f16 v5.l, null, v2.l
// GFX13: v_fmac_f16_e32 v5.l, null, v2.l         ; encoding: [0x7c,0x04,0x0a,0x6c]

v_fmac_f16 v5.l, -1, v2.l
// GFX13: v_fmac_f16_e32 v5.l, -1, v2.l           ; encoding: [0xc1,0x04,0x0a,0x6c]

v_fmac_f16 v5.l, 0.5, v2.l
// GFX13: v_fmac_f16_e32 v5.l, 0.5, v2.l          ; encoding: [0xf0,0x04,0x0a,0x6c]

v_fmac_f16 v5.l, src_scc, v2.l
// GFX13: v_fmac_f16_e32 v5.l, src_scc, v2.l      ; encoding: [0xfd,0x04,0x0a,0x6c]

v_fmac_f16 v127.l, 0xfe0b, v127.l
// GFX13: v_fmac_f16_e32 v127.l, 0xfe0b, v127.l   ; encoding: [0xff,0xfe,0xfe,0x6c,0x0b,0xfe,0x00,0x00]

v_fmac_f32 v5, v1, v2
// GFX13: v_fmac_f32_e32 v5, v1, v2               ; encoding: [0x01,0x05,0x0a,0x56]

v_fmac_f32 v5, v255, v2
// GFX13: v_fmac_f32_e32 v5, v255, v2             ; encoding: [0xff,0x05,0x0a,0x56]

v_fmac_f32 v5, s1, v2
// GFX13: v_fmac_f32_e32 v5, s1, v2               ; encoding: [0x01,0x04,0x0a,0x56]

v_fmac_f32 v5, s105, v2
// GFX13: v_fmac_f32_e32 v5, s105, v2             ; encoding: [0x69,0x04,0x0a,0x56]

v_fmac_f32 v5, vcc_lo, v2
// GFX13: v_fmac_f32_e32 v5, vcc_lo, v2           ; encoding: [0x6a,0x04,0x0a,0x56]

v_fmac_f32 v5, vcc_hi, v2
// GFX13: v_fmac_f32_e32 v5, vcc_hi, v2           ; encoding: [0x6b,0x04,0x0a,0x56]

v_fmac_f32 v5, ttmp15, v2
// GFX13: v_fmac_f32_e32 v5, ttmp15, v2           ; encoding: [0x7b,0x04,0x0a,0x56]

v_fmac_f32 v5, m0, v2
// GFX13: v_fmac_f32_e32 v5, m0, v2               ; encoding: [0x7d,0x04,0x0a,0x56]

v_fmac_f32 v5, exec_lo, v2
// GFX13: v_fmac_f32_e32 v5, exec_lo, v2          ; encoding: [0x7e,0x04,0x0a,0x56]

v_fmac_f32 v5, exec_hi, v2
// GFX13: v_fmac_f32_e32 v5, exec_hi, v2          ; encoding: [0x7f,0x04,0x0a,0x56]

v_fmac_f32 v5, null, v2
// GFX13: v_fmac_f32_e32 v5, null, v2             ; encoding: [0x7c,0x04,0x0a,0x56]

v_fmac_f32 v5, -1, v2
// GFX13: v_fmac_f32_e32 v5, -1, v2               ; encoding: [0xc1,0x04,0x0a,0x56]

v_fmac_f32 v5, 0.5, v2
// GFX13: v_fmac_f32_e32 v5, 0.5, v2              ; encoding: [0xf0,0x04,0x0a,0x56]

v_fmac_f32 v5, src_scc, v2
// GFX13: v_fmac_f32_e32 v5, src_scc, v2          ; encoding: [0xfd,0x04,0x0a,0x56]

v_fmac_f32 v255, 0xaf123456, v255
// GFX13: v_fmac_f32_e32 v255, 0xaf123456, v255   ; encoding: [0xff,0xfe,0xff,0x57,0x56,0x34,0x12,0xaf]

v_fmac_f64 v[254:255], v[2:3], v[4:5]
// GFX13: v_fmac_f64_e32 v[254:255], v[2:3], v[4:5] ; encoding: [0x02,0x09,0xfc,0x3f]

v_fmac_f64 v[254:255], v[2:3], v[8:9]
// GFX13: v_fmac_f64_e32 v[254:255], v[2:3], v[8:9] ; encoding: [0x02,0x11,0xfc,0x3f]

v_fmac_f64 v[4:5], -1, v[4:5]
// GFX13: v_fmac_f64_e32 v[4:5], -1, v[4:5]       ; encoding: [0xc1,0x08,0x08,0x3e]

v_fmac_f64 v[4:5], -1, v[8:9]
// GFX13: v_fmac_f64_e32 v[4:5], -1, v[8:9]       ; encoding: [0xc1,0x10,0x08,0x3e]

v_fmac_f64 v[4:5], -4.0, v[4:5]
// GFX13: v_fmac_f64_e32 v[4:5], -4.0, v[4:5]     ; encoding: [0xf7,0x08,0x08,0x3e]

v_fmac_f64 v[4:5], -4.0, v[8:9]
// GFX13: v_fmac_f64_e32 v[4:5], -4.0, v[8:9]     ; encoding: [0xf7,0x10,0x08,0x3e]

v_fmac_f64 v[4:5], -v[2:3], -v[8:9]
// GFX13: v_fmac_f64_e64 v[4:5], -v[2:3], -v[8:9] ; encoding: [0x04,0x00,0x1f,0xd5,0x02,0x11,0x02,0x62]

v_fmac_f64 v[4:5], -v[2:3], v[8:9]
// GFX13: v_fmac_f64_e64 v[4:5], -v[2:3], v[8:9]  ; encoding: [0x04,0x00,0x1f,0xd5,0x02,0x11,0x02,0x22]

v_fmac_f64 v[4:5], 0, v[4:5]
// GFX13: v_fmac_f64_e32 v[4:5], 0, v[4:5]        ; encoding: [0x80,0x08,0x08,0x3e]

v_fmac_f64 v[4:5], 0, v[8:9]
// GFX13: v_fmac_f64_e32 v[4:5], 0, v[8:9]        ; encoding: [0x80,0x10,0x08,0x3e]

v_fmac_f64 v[4:5], 0.5, v[4:5]
// GFX13: v_fmac_f64_e32 v[4:5], 0.5, v[4:5]      ; encoding: [0xf0,0x08,0x08,0x3e]

v_fmac_f64 v[4:5], 0.5, v[8:9]
// GFX13: v_fmac_f64_e32 v[4:5], 0.5, v[8:9]      ; encoding: [0xf0,0x10,0x08,0x3e]

v_fmac_f64 v[4:5], 0x3f717273, v[4:5]
// GFX13: v_fmac_f64_e32 v[4:5], 0x3f717273, v[4:5] ; encoding: [0xff,0x08,0x08,0x3e,0x73,0x72,0x71,0x3f]

v_fmac_f64 v[4:5], 0xaf123456, v[4:5]
// GFX13: v_fmac_f64_e32 v[4:5], 0xaf123456, v[4:5] ; encoding: [0xff,0x08,0x08,0x3e,0x56,0x34,0x12,0xaf]

v_fmac_f64 v[4:5], exec, v[4:5]
// GFX13: v_fmac_f64_e32 v[4:5], exec, v[4:5]     ; encoding: [0x7e,0x08,0x08,0x3e]

v_fmac_f64 v[4:5], exec, v[8:9]
// GFX13: v_fmac_f64_e32 v[4:5], exec, v[8:9]     ; encoding: [0x7e,0x10,0x08,0x3e]

v_fmac_f64 v[4:5], v[254:255], v[4:5]
// GFX13: v_fmac_f64_e32 v[4:5], v[254:255], v[4:5] ; encoding: [0xfe,0x09,0x08,0x3e]

v_fmac_f64 v[4:5], v[254:255], v[8:9]
// GFX13: v_fmac_f64_e32 v[4:5], v[254:255], v[8:9] ; encoding: [0xfe,0x11,0x08,0x3e]

v_fmac_f64 v[4:5], v[2:3], -1
// GFX13: v_fmac_f64_e64 v[4:5], v[2:3], -1       ; encoding: [0x04,0x00,0x1f,0xd5,0x02,0x83,0x01,0x02]

v_fmac_f64 v[4:5], v[2:3], -4.0
// GFX13: v_fmac_f64_e64 v[4:5], v[2:3], -4.0     ; encoding: [0x04,0x00,0x1f,0xd5,0x02,0xef,0x01,0x02]

v_fmac_f64 v[4:5], v[2:3], -v[8:9]
// GFX13: v_fmac_f64_e64 v[4:5], v[2:3], -v[8:9]  ; encoding: [0x04,0x00,0x1f,0xd5,0x02,0x11,0x02,0x42]

v_fmac_f64 v[4:5], v[2:3], 0
// GFX13: v_fmac_f64_e64 v[4:5], v[2:3], 0        ; encoding: [0x04,0x00,0x1f,0xd5,0x02,0x01,0x01,0x02]

v_fmac_f64 v[4:5], v[2:3], 0.5
// GFX13: v_fmac_f64_e64 v[4:5], v[2:3], 0.5      ; encoding: [0x04,0x00,0x1f,0xd5,0x02,0xe1,0x01,0x02]

v_fmac_f64 v[4:5], v[2:3], exec
// GFX13: v_fmac_f64_e64 v[4:5], v[2:3], exec     ; encoding: [0x04,0x00,0x1f,0xd5,0x02,0xfd,0x00,0x02]

v_fmac_f64 v[4:5], v[2:3], v[254:255]
// GFX13: v_fmac_f64_e32 v[4:5], v[2:3], v[254:255] ; encoding: [0x02,0xfd,0x09,0x3e]

v_fmac_f64 v[4:5], v[2:3], v[254:255]
// GFX13: v_fmac_f64_e32 v[4:5], v[2:3], v[254:255] ; encoding: [0x02,0xfd,0x09,0x3e]

v_fmac_f64 v[4:5], v[2:3], v[4:5]
// GFX13: v_fmac_f64_e32 v[4:5], v[2:3], v[4:5]   ; encoding: [0x02,0x09,0x08,0x3e]

v_fmac_f64 v[4:5], v[2:3], v[8:9]
// GFX13: v_fmac_f64_e32 v[4:5], v[2:3], v[8:9]   ; encoding: [0x02,0x11,0x08,0x3e]

v_fmac_f64 v[4:5], v[2:3], v[8:9] clamp
// GFX13: v_fmac_f64_e64 v[4:5], v[2:3], v[8:9] clamp ; encoding: [0x04,0x80,0x1f,0xd5,0x02,0x11,0x02,0x02]

v_fmac_f64 v[4:5], v[2:3], v[8:9] div:2
// GFX13: v_fmac_f64_e64 v[4:5], v[2:3], v[8:9] div:2 ; encoding: [0x04,0x00,0x1f,0xd5,0x02,0x11,0x02,0x1a]

v_fmac_f64 v[4:5], v[2:3], v[8:9] mul:2
// GFX13: v_fmac_f64_e64 v[4:5], v[2:3], v[8:9] mul:2 ; encoding: [0x04,0x00,0x1f,0xd5,0x02,0x11,0x02,0x0a]

v_fmac_f64 v[4:5], v[2:3], v[8:9] mul:4
// GFX13: v_fmac_f64_e64 v[4:5], v[2:3], v[8:9] mul:4 ; encoding: [0x04,0x00,0x1f,0xd5,0x02,0x11,0x02,0x12]

v_fmac_f64 v[4:5], v[2:3], vcc
// GFX13: v_fmac_f64_e64 v[4:5], v[2:3], vcc      ; encoding: [0x04,0x00,0x1f,0xd5,0x02,0xd5,0x00,0x02]

v_fmac_f64 v[4:5], v[2:3], |v[8:9]|
// GFX13: v_fmac_f64_e64 v[4:5], v[2:3], |v[8:9]| ; encoding: [0x04,0x02,0x1f,0xd5,0x02,0x11,0x02,0x02]

v_fmac_f64 v[4:5], vcc, v[4:5]
// GFX13: v_fmac_f64_e32 v[4:5], vcc, v[4:5]      ; encoding: [0x6a,0x08,0x08,0x3e]

v_fmac_f64 v[4:5], vcc, v[8:9]
// GFX13: v_fmac_f64_e32 v[4:5], vcc, v[8:9]      ; encoding: [0x6a,0x10,0x08,0x3e]

v_fmac_f64 v[4:5], |v[2:3]|, v[8:9]
// GFX13: v_fmac_f64_e64 v[4:5], |v[2:3]|, v[8:9] ; encoding: [0x04,0x01,0x1f,0xd5,0x02,0x11,0x02,0x02]

v_fmac_f64 v[4:5], |v[2:3]|, |v[8:9]|
// GFX13: v_fmac_f64_e64 v[4:5], |v[2:3]|, |v[8:9]| ; encoding: [0x04,0x03,0x1f,0xd5,0x02,0x11,0x02,0x02]

v_fmamk_f16 v5.l, v1.l, 0xfe0b, v3.l
// GFX13: v_fmamk_f16 v5.l, v1.l, 0xfe0b, v3.l    ; encoding: [0x01,0x07,0x0a,0x6e,0x0b,0xfe,0x00,0x00]

v_fmamk_f16 v5.l, v127.l, 0xfe0b, v3.l
// GFX13: v_fmamk_f16 v5.l, v127.l, 0xfe0b, v3.l  ; encoding: [0x7f,0x07,0x0a,0x6e,0x0b,0xfe,0x00,0x00]

v_fmamk_f16 v5.l, s1, 0xfe0b, v3.l
// GFX13: v_fmamk_f16 v5.l, s1, 0xfe0b, v3.l      ; encoding: [0x01,0x06,0x0a,0x6e,0x0b,0xfe,0x00,0x00]

v_fmamk_f16 v5.l, s105, 0xfe0b, v3.l
// GFX13: v_fmamk_f16 v5.l, s105, 0xfe0b, v3.l    ; encoding: [0x69,0x06,0x0a,0x6e,0x0b,0xfe,0x00,0x00]

v_fmamk_f16 v5.l, vcc_lo, 0xfe0b, v3.l
// GFX13: v_fmamk_f16 v5.l, vcc_lo, 0xfe0b, v3.l  ; encoding: [0x6a,0x06,0x0a,0x6e,0x0b,0xfe,0x00,0x00]

v_fmamk_f16 v5.l, vcc_hi, 0xfe0b, v3.l
// GFX13: v_fmamk_f16 v5.l, vcc_hi, 0xfe0b, v3.l  ; encoding: [0x6b,0x06,0x0a,0x6e,0x0b,0xfe,0x00,0x00]

v_fmamk_f16 v5.l, ttmp15, 0xfe0b, v3.l
// GFX13: v_fmamk_f16 v5.l, ttmp15, 0xfe0b, v3.l  ; encoding: [0x7b,0x06,0x0a,0x6e,0x0b,0xfe,0x00,0x00]

v_fmamk_f16 v5.l, m0, 0xfe0b, v3.l
// GFX13: v_fmamk_f16 v5.l, m0, 0xfe0b, v3.l      ; encoding: [0x7d,0x06,0x0a,0x6e,0x0b,0xfe,0x00,0x00]

v_fmamk_f16 v5.l, exec_lo, 0xfe0b, v3.l
// GFX13: v_fmamk_f16 v5.l, exec_lo, 0xfe0b, v3.l ; encoding: [0x7e,0x06,0x0a,0x6e,0x0b,0xfe,0x00,0x00]

v_fmamk_f16 v5.l, exec_hi, 0xfe0b, v3.l
// GFX13: v_fmamk_f16 v5.l, exec_hi, 0xfe0b, v3.l ; encoding: [0x7f,0x06,0x0a,0x6e,0x0b,0xfe,0x00,0x00]

v_fmamk_f16 v5.l, null, 0xfe0b, v3.l
// GFX13: v_fmamk_f16 v5.l, null, 0xfe0b, v3.l    ; encoding: [0x7c,0x06,0x0a,0x6e,0x0b,0xfe,0x00,0x00]

v_fmamk_f16 v5.l, -1, 0xfe0b, v3.l
// GFX13: v_fmamk_f16 v5.l, -1, 0xfe0b, v3.l      ; encoding: [0xc1,0x06,0x0a,0x6e,0x0b,0xfe,0x00,0x00]

v_fmamk_f16 v5.l, 0.5, 0xfe0b, v3.l
// GFX13: v_fmamk_f16 v5.l, 0.5, 0xfe0b, v3.l     ; encoding: [0xf0,0x06,0x0a,0x6e,0x0b,0xfe,0x00,0x00]

v_fmamk_f16 v5.l, src_scc, 0xfe0b, v3.l
// GFX13: v_fmamk_f16 v5.l, src_scc, 0xfe0b, v3.l ; encoding: [0xfd,0x06,0x0a,0x6e,0x0b,0xfe,0x00,0x00]

v_fmamk_f16 v127.l, 0xfe0b, 0xfe0b, v127.l
// GFX13: v_fmamk_f16 v127.l, 0xfe0b, 0xfe0b, v127.l ; encoding: [0xff,0xfe,0xfe,0x6e,0x0b,0xfe,0x00,0x00]

v_fmamk_f32 v5, v1, 0xaf123456, v3
// GFX13: v_fmamk_f32 v5, v1, 0xaf123456, v3      ; encoding: [0x01,0x07,0x0a,0x58,0x56,0x34,0x12,0xaf]

v_fmamk_f32 v5, v255, 0xaf123456, v3
// GFX13: v_fmamk_f32 v5, v255, 0xaf123456, v3    ; encoding: [0xff,0x07,0x0a,0x58,0x56,0x34,0x12,0xaf]

v_fmamk_f32 v5, s1, 0xaf123456, v3
// GFX13: v_fmamk_f32 v5, s1, 0xaf123456, v3      ; encoding: [0x01,0x06,0x0a,0x58,0x56,0x34,0x12,0xaf]

v_fmamk_f32 v5, s105, 0xaf123456, v3
// GFX13: v_fmamk_f32 v5, s105, 0xaf123456, v3    ; encoding: [0x69,0x06,0x0a,0x58,0x56,0x34,0x12,0xaf]

v_fmamk_f32 v5, vcc_lo, 0xaf123456, v3
// GFX13: v_fmamk_f32 v5, vcc_lo, 0xaf123456, v3  ; encoding: [0x6a,0x06,0x0a,0x58,0x56,0x34,0x12,0xaf]

v_fmamk_f32 v5, vcc_hi, 0xaf123456, v3
// GFX13: v_fmamk_f32 v5, vcc_hi, 0xaf123456, v3  ; encoding: [0x6b,0x06,0x0a,0x58,0x56,0x34,0x12,0xaf]

v_fmamk_f32 v5, ttmp15, 0xaf123456, v3
// GFX13: v_fmamk_f32 v5, ttmp15, 0xaf123456, v3  ; encoding: [0x7b,0x06,0x0a,0x58,0x56,0x34,0x12,0xaf]

v_fmamk_f32 v5, m0, 0xaf123456, v3
// GFX13: v_fmamk_f32 v5, m0, 0xaf123456, v3      ; encoding: [0x7d,0x06,0x0a,0x58,0x56,0x34,0x12,0xaf]

v_fmamk_f32 v5, exec_lo, 0xaf123456, v3
// GFX13: v_fmamk_f32 v5, exec_lo, 0xaf123456, v3 ; encoding: [0x7e,0x06,0x0a,0x58,0x56,0x34,0x12,0xaf]

v_fmamk_f32 v5, exec_hi, 0xaf123456, v3
// GFX13: v_fmamk_f32 v5, exec_hi, 0xaf123456, v3 ; encoding: [0x7f,0x06,0x0a,0x58,0x56,0x34,0x12,0xaf]

v_fmamk_f32 v5, null, 0xaf123456, v3
// GFX13: v_fmamk_f32 v5, null, 0xaf123456, v3    ; encoding: [0x7c,0x06,0x0a,0x58,0x56,0x34,0x12,0xaf]

v_fmamk_f32 v5, -1, 0xaf123456, v3
// GFX13: v_fmamk_f32 v5, -1, 0xaf123456, v3      ; encoding: [0xc1,0x06,0x0a,0x58,0x56,0x34,0x12,0xaf]

v_fmamk_f32 v5, 0.5, 0xaf123456, v3
// GFX13: v_fmamk_f32 v5, 0.5, 0xaf123456, v3     ; encoding: [0xf0,0x06,0x0a,0x58,0x56,0x34,0x12,0xaf]

v_fmamk_f32 v5, src_scc, 0xaf123456, v3
// GFX13: v_fmamk_f32 v5, src_scc, 0xaf123456, v3 ; encoding: [0xfd,0x06,0x0a,0x58,0x56,0x34,0x12,0xaf]

v_fmamk_f32 v255, 0xaf123456, 0xaf123456, v255
// GFX13: v_fmamk_f32 v255, 0xaf123456, 0xaf123456, v255 ; encoding: [0xff,0xfe,0xff,0x59,0x56,0x34,0x12,0xaf]

v_fmamk_f64 v[254:255], 0x405ec000, 0x405ec000, v[254:255]
// GFX13: v_fmamk_f64 v[254:255], 0x405ec000, 0x405ec000, v[254:255] ; encoding: [0xfe,0xfc,0xfd,0x41,0x00,0x00,0x00,0x00,0x00,0xc0,0x5e,0x40]

v_fmamk_f64 v[254:255], 0x405ec00012345678, 0x405ec00012345678, v[254:255]
// GFX13: v_fmamk_f64 v[254:255], 0x405ec00012345678, 0x405ec00012345678, v[254:255] ; encoding: [0xfe,0xfc,0xfd,0x41,0x78,0x56,0x34,0x12,0x00,0xc0,0x5e,0x40]

v_fmamk_f64 v[254:255], 123.0, 0x405ec000, v[2:3]
// GFX13: v_fmamk_f64 v[254:255], 0x405ec000, 0x405ec000, v[2:3] ; encoding: [0xfe,0x04,0xfc,0x41,0x00,0x00,0x00,0x00,0x00,0xc0,0x5e,0x40]

v_fmamk_f64 v[4:5], 0x405ec66666666666, 123.1, v[6:7]
// GFX13: v_fmamk_f64 v[4:5], 0x405ec66666666666, 0x405ec66666666666, v[6:7] ; encoding: [0xfe,0x0c,0x08,0x40,0x66,0x66,0x66,0x66,0x66,0xc6,0x5e,0x40]

v_fmamk_f64 v[4:5], 1.0, 1.0, v[6:7]
// GFX13: v_fmamk_f64 v[4:5], 1.0, 0x3ff00000, v[6:7] ; encoding: [0xf2,0x0c,0x08,0x40,0x00,0x00,0x00,0x00,0x00,0x00,0xf0,0x3f]

v_fmamk_f64 v[4:5], 123.1, 123.1, v[8:9]
// GFX13: v_fmamk_f64 v[4:5], 0x405ec66666666666, 0x405ec66666666666, v[8:9] ; encoding: [0xfe,0x10,0x08,0x40,0x66,0x66,0x66,0x66,0x66,0xc6,0x5e,0x40]

v_fmamk_f64 v[4:5], 1e-320, 1e-320, v[6:7]
// GFX13: v_fmamk_f64 v[4:5], lit64(0x7e8), lit64(0x7e8), v[6:7] ; encoding: [0xfe,0x0c,0x08,0x40,0xe8,0x07,0x00,0x00,0x00,0x00,0x00,0x00]

v_fmamk_f64 v[4:5], lit64(0x7e8), 1e-320, v[8:9]
// GFX13: v_fmamk_f64 v[4:5], lit64(0x7e8), lit64(0x7e8), v[8:9] ; encoding: [0xfe,0x10,0x08,0x40,0xe8,0x07,0x00,0x00,0x00,0x00,0x00,0x00]

v_fmamk_f64 v[4:5], lit64(0x7e8), lit64(0x7e8), v[8:9]
// GFX13: v_fmamk_f64 v[4:5], lit64(0x7e8), lit64(0x7e8), v[8:9] ; encoding: [0xfe,0x10,0x08,0x40,0xe8,0x07,0x00,0x00,0x00,0x00,0x00,0x00]

v_fmamk_f64 v[4:5], v[2:3], 123.1, v[6:7]
// GFX13: v_fmamk_f64 v[4:5], v[2:3], 0x405ec66666666666, v[6:7] ; encoding: [0x02,0x0d,0x08,0x40,0x66,0x66,0x66,0x66,0x66,0xc6,0x5e,0x40]

v_fmamk_f64 v[6:7], -1, 0x405ec000, v[2:3]
// GFX13: v_fmamk_f64 v[6:7], -1, 0x405ec000, v[2:3] ; encoding: [0xc1,0x04,0x0c,0x40,0x00,0x00,0x00,0x00,0x00,0xc0,0x5e,0x40]

v_fmamk_f64 v[6:7], 0.5, 0x405ec000, v[2:3]
// GFX13: v_fmamk_f64 v[6:7], 0.5, 0x405ec000, v[2:3] ; encoding: [0xf0,0x04,0x0c,0x40,0x00,0x00,0x00,0x00,0x00,0xc0,0x5e,0x40]

v_fmamk_f64 v[6:7], exec, 0x405ec000, v[2:3]
// GFX13: v_fmamk_f64 v[6:7], exec, 0x405ec000, v[2:3] ; encoding: [0x7e,0x04,0x0c,0x40,0x00,0x00,0x00,0x00,0x00,0xc0,0x5e,0x40]

v_fmamk_f64 v[6:7], null, 0x405ec000, v[2:3]
// GFX13: v_fmamk_f64 v[6:7], null, 0x405ec000, v[2:3] ; encoding: [0x7c,0x04,0x0c,0x40,0x00,0x00,0x00,0x00,0x00,0xc0,0x5e,0x40]

v_fmamk_f64 v[6:7], s[2:3], 0x405ec00012345678, v[2:3]
// GFX13: v_fmamk_f64 v[6:7], s[2:3], 0x405ec00012345678, v[2:3] ; encoding: [0x02,0x04,0x0c,0x40,0x78,0x56,0x34,0x12,0x00,0xc0,0x5e,0x40]

v_fmamk_f64 v[6:7], src_scc, 0x405ec000, v[2:3]
// GFX13: v_fmamk_f64 v[6:7], src_scc, 0x405ec000, v[2:3] ; encoding: [0xfd,0x04,0x0c,0x40,0x00,0x00,0x00,0x00,0x00,0xc0,0x5e,0x40]

v_fmamk_f64 v[6:7], v[254:255], 0x405ec00000000000, v[2:3]
// GFX13: v_fmamk_f64 v[6:7], v[254:255], 0x405ec000, v[2:3] ; encoding: [0xfe,0x05,0x0c,0x40,0x00,0x00,0x00,0x00,0x00,0xc0,0x5e,0x40]

v_fmamk_f64 v[6:7], v[4:5], 0x405ec000, v[2:3]
// GFX13: v_fmamk_f64 v[6:7], v[4:5], 0x405ec000, v[2:3] ; encoding: [0x04,0x05,0x0c,0x40,0x00,0x00,0x00,0x00,0x00,0xc0,0x5e,0x40]

v_fmamk_f64 v[6:7], vcc, 0x405ec000, v[2:3]
// GFX13: v_fmamk_f64 v[6:7], vcc, 0x405ec000, v[2:3] ; encoding: [0x6a,0x04,0x0c,0x40,0x00,0x00,0x00,0x00,0x00,0xc0,0x5e,0x40]

v_ldexp_f16 v5.l, v1.l, v2.l
// GFX13: v_ldexp_f16_e32 v5.l, v1.l, v2.l        ; encoding: [0x01,0x05,0x0a,0x76]

v_ldexp_f16 v5.l, v127.l, v2.l
// GFX13: v_ldexp_f16_e32 v5.l, v127.l, v2.l      ; encoding: [0x7f,0x05,0x0a,0x76]

v_ldexp_f16 v5.l, s1, v2.l
// GFX13: v_ldexp_f16_e32 v5.l, s1, v2.l          ; encoding: [0x01,0x04,0x0a,0x76]

v_ldexp_f16 v5.l, s105, v2.l
// GFX13: v_ldexp_f16_e32 v5.l, s105, v2.l        ; encoding: [0x69,0x04,0x0a,0x76]

v_ldexp_f16 v5.l, vcc_lo, v2.l
// GFX13: v_ldexp_f16_e32 v5.l, vcc_lo, v2.l      ; encoding: [0x6a,0x04,0x0a,0x76]

v_ldexp_f16 v5.l, vcc_hi, v2.l
// GFX13: v_ldexp_f16_e32 v5.l, vcc_hi, v2.l      ; encoding: [0x6b,0x04,0x0a,0x76]

v_ldexp_f16 v5.l, ttmp15, v2.l
// GFX13: v_ldexp_f16_e32 v5.l, ttmp15, v2.l      ; encoding: [0x7b,0x04,0x0a,0x76]

v_ldexp_f16 v5.l, m0, v2.l
// GFX13: v_ldexp_f16_e32 v5.l, m0, v2.l          ; encoding: [0x7d,0x04,0x0a,0x76]

v_ldexp_f16 v5.l, exec_lo, v2.l
// GFX13: v_ldexp_f16_e32 v5.l, exec_lo, v2.l     ; encoding: [0x7e,0x04,0x0a,0x76]

v_ldexp_f16 v5.l, exec_hi, v2.l
// GFX13: v_ldexp_f16_e32 v5.l, exec_hi, v2.l     ; encoding: [0x7f,0x04,0x0a,0x76]

v_ldexp_f16 v5.l, null, v2.l
// GFX13: v_ldexp_f16_e32 v5.l, null, v2.l        ; encoding: [0x7c,0x04,0x0a,0x76]

v_ldexp_f16 v5.l, -1, v2.l
// GFX13: v_ldexp_f16_e32 v5.l, -1, v2.l          ; encoding: [0xc1,0x04,0x0a,0x76]

v_ldexp_f16 v5.l, 0.5, v2.l
// GFX13: v_ldexp_f16_e32 v5.l, 0.5, v2.l         ; encoding: [0xf0,0x04,0x0a,0x76]

v_ldexp_f16 v5.l, src_scc, v2.l
// GFX13: v_ldexp_f16_e32 v5.l, src_scc, v2.l     ; encoding: [0xfd,0x04,0x0a,0x76]

v_ldexp_f16 v127.l, 0xfe0b, v127.l
// GFX13: v_ldexp_f16_e32 v127.l, 0xfe0b, v127.l  ; encoding: [0xff,0xfe,0xfe,0x76,0x0b,0xfe,0x00,0x00]

v_lshlrev_b32 v5, v1, v2
// GFX13: v_lshlrev_b32_e32 v5, v1, v2            ; encoding: [0x01,0x05,0x0a,0x34]

v_lshlrev_b32 v5, v255, v2
// GFX13: v_lshlrev_b32_e32 v5, v255, v2          ; encoding: [0xff,0x05,0x0a,0x34]

v_lshlrev_b32 v5, s1, v2
// GFX13: v_lshlrev_b32_e32 v5, s1, v2            ; encoding: [0x01,0x04,0x0a,0x34]

v_lshlrev_b32 v5, s105, v2
// GFX13: v_lshlrev_b32_e32 v5, s105, v2          ; encoding: [0x69,0x04,0x0a,0x34]

v_lshlrev_b32 v5, vcc_lo, v2
// GFX13: v_lshlrev_b32_e32 v5, vcc_lo, v2        ; encoding: [0x6a,0x04,0x0a,0x34]

v_lshlrev_b32 v5, vcc_hi, v2
// GFX13: v_lshlrev_b32_e32 v5, vcc_hi, v2        ; encoding: [0x6b,0x04,0x0a,0x34]

v_lshlrev_b32 v5, ttmp15, v2
// GFX13: v_lshlrev_b32_e32 v5, ttmp15, v2        ; encoding: [0x7b,0x04,0x0a,0x34]

v_lshlrev_b32 v5, m0, v2
// GFX13: v_lshlrev_b32_e32 v5, m0, v2            ; encoding: [0x7d,0x04,0x0a,0x34]

v_lshlrev_b32 v5, exec_lo, v2
// GFX13: v_lshlrev_b32_e32 v5, exec_lo, v2       ; encoding: [0x7e,0x04,0x0a,0x34]

v_lshlrev_b32 v5, exec_hi, v2
// GFX13: v_lshlrev_b32_e32 v5, exec_hi, v2       ; encoding: [0x7f,0x04,0x0a,0x34]

v_lshlrev_b32 v5, null, v2
// GFX13: v_lshlrev_b32_e32 v5, null, v2          ; encoding: [0x7c,0x04,0x0a,0x34]

v_lshlrev_b32 v5, -1, v2
// GFX13: v_lshlrev_b32_e32 v5, -1, v2            ; encoding: [0xc1,0x04,0x0a,0x34]

v_lshlrev_b32 v5, 0.5, v2
// GFX13: v_lshlrev_b32_e32 v5, 0.5, v2           ; encoding: [0xf0,0x04,0x0a,0x34]

v_lshlrev_b32 v5, src_scc, v2
// GFX13: v_lshlrev_b32_e32 v5, src_scc, v2       ; encoding: [0xfd,0x04,0x0a,0x34]

v_lshlrev_b32 v255, 0xaf123456, v255
// GFX13: v_lshlrev_b32_e32 v255, 0xaf123456, v255 ; encoding: [0xff,0xfe,0xff,0x35,0x56,0x34,0x12,0xaf]

v_lshlrev_b64 v[5:6], v1, v[3:4]
// GFX13: v_lshlrev_b64_e32 v[5:6], v1, v[3:4]    ; encoding: [0x01,0x07,0x0a,0x44]

v_lshlrev_b64 v[5:6], v255, v[2:3]
// GFX13: v_lshlrev_b64_e32 v[5:6], v255, v[2:3]  ; encoding: [0xff,0x05,0x0a,0x44]

v_lshlrev_b64 v[5:6], s1, v[2:3]
// GFX13: v_lshlrev_b64_e32 v[5:6], s1, v[2:3]    ; encoding: [0x01,0x04,0x0a,0x44]

v_lshlrev_b64 v[5:6], s105, v[2:3]
// GFX13: v_lshlrev_b64_e32 v[5:6], s105, v[2:3]  ; encoding: [0x69,0x04,0x0a,0x44]

v_lshlrev_b64 v[5:6], vcc_lo, v[2:3]
// GFX13: v_lshlrev_b64_e32 v[5:6], vcc_lo, v[2:3] ; encoding: [0x6a,0x04,0x0a,0x44]

v_lshlrev_b64 v[5:6], vcc_hi, v[2:3]
// GFX13: v_lshlrev_b64_e32 v[5:6], vcc_hi, v[2:3] ; encoding: [0x6b,0x04,0x0a,0x44]

v_lshlrev_b64 v[5:6], ttmp15, v[2:3]
// GFX13: v_lshlrev_b64_e32 v[5:6], ttmp15, v[2:3] ; encoding: [0x7b,0x04,0x0a,0x44]

v_lshlrev_b64 v[5:6], exec_lo, v[2:3]
// GFX13: v_lshlrev_b64_e32 v[5:6], exec_lo, v[2:3] ; encoding: [0x7e,0x04,0x0a,0x44]

v_lshlrev_b64 v[5:6], exec_hi, v[2:3]
// GFX13: v_lshlrev_b64_e32 v[5:6], exec_hi, v[2:3] ; encoding: [0x7f,0x04,0x0a,0x44]

v_lshlrev_b64 v[5:6], null, v[2:3]
// GFX13: v_lshlrev_b64_e32 v[5:6], null, v[2:3]  ; encoding: [0x7c,0x04,0x0a,0x44]

v_lshlrev_b64 v[5:6], -1, v[2:3]
// GFX13: v_lshlrev_b64_e32 v[5:6], -1, v[2:3]    ; encoding: [0xc1,0x04,0x0a,0x44]

v_lshlrev_b64 v[5:6], 0.5, v[2:3]
// GFX13: v_lshlrev_b64_e32 v[5:6], 0.5, v[2:3]   ; encoding: [0xf0,0x04,0x0a,0x44]

v_lshlrev_b64 v[5:6], src_scc, v[2:3]
// GFX13: v_lshlrev_b64_e32 v[5:6], src_scc, v[2:3] ; encoding: [0xfd,0x04,0x0a,0x44]

v_lshlrev_b64 v[254:255], 0xaf123456, v[254:255]
// GFX13: v_lshlrev_b64_e32 v[254:255], 0xaf123456, v[254:255] ; encoding: [0xff,0xfc,0xfd,0x45,0x56,0x34,0x12,0xaf]

v_lshrrev_b32 v5, v1, v2
// GFX13: v_lshrrev_b32_e32 v5, v1, v2            ; encoding: [0x01,0x05,0x0a,0x2c]

v_lshrrev_b32 v5, v255, v2
// GFX13: v_lshrrev_b32_e32 v5, v255, v2          ; encoding: [0xff,0x05,0x0a,0x2c]

v_lshrrev_b32 v5, s1, v2
// GFX13: v_lshrrev_b32_e32 v5, s1, v2            ; encoding: [0x01,0x04,0x0a,0x2c]

v_lshrrev_b32 v5, s105, v2
// GFX13: v_lshrrev_b32_e32 v5, s105, v2          ; encoding: [0x69,0x04,0x0a,0x2c]

v_lshrrev_b32 v5, vcc_lo, v2
// GFX13: v_lshrrev_b32_e32 v5, vcc_lo, v2        ; encoding: [0x6a,0x04,0x0a,0x2c]

v_lshrrev_b32 v5, vcc_hi, v2
// GFX13: v_lshrrev_b32_e32 v5, vcc_hi, v2        ; encoding: [0x6b,0x04,0x0a,0x2c]

v_lshrrev_b32 v5, ttmp15, v2
// GFX13: v_lshrrev_b32_e32 v5, ttmp15, v2        ; encoding: [0x7b,0x04,0x0a,0x2c]

v_lshrrev_b32 v5, m0, v2
// GFX13: v_lshrrev_b32_e32 v5, m0, v2            ; encoding: [0x7d,0x04,0x0a,0x2c]

v_lshrrev_b32 v5, exec_lo, v2
// GFX13: v_lshrrev_b32_e32 v5, exec_lo, v2       ; encoding: [0x7e,0x04,0x0a,0x2c]

v_lshrrev_b32 v5, exec_hi, v2
// GFX13: v_lshrrev_b32_e32 v5, exec_hi, v2       ; encoding: [0x7f,0x04,0x0a,0x2c]

v_lshrrev_b32 v5, null, v2
// GFX13: v_lshrrev_b32_e32 v5, null, v2          ; encoding: [0x7c,0x04,0x0a,0x2c]

v_lshrrev_b32 v5, -1, v2
// GFX13: v_lshrrev_b32_e32 v5, -1, v2            ; encoding: [0xc1,0x04,0x0a,0x2c]

v_lshrrev_b32 v5, 0.5, v2
// GFX13: v_lshrrev_b32_e32 v5, 0.5, v2           ; encoding: [0xf0,0x04,0x0a,0x2c]

v_lshrrev_b32 v5, src_scc, v2
// GFX13: v_lshrrev_b32_e32 v5, src_scc, v2       ; encoding: [0xfd,0x04,0x0a,0x2c]

v_lshrrev_b32 v255, 0xaf123456, v255
// GFX13: v_lshrrev_b32_e32 v255, 0xaf123456, v255 ; encoding: [0xff,0xfe,0xff,0x2d,0x56,0x34,0x12,0xaf]

v_max_num_f16 v5.l, v1.l, v2.l
// GFX13: v_max_num_f16_e32 v5.l, v1.l, v2.l      ; encoding: [0x01,0x05,0x0a,0x72]

v_max_num_f16 v5.l, v127.l, v2.l
// GFX13: v_max_num_f16_e32 v5.l, v127.l, v2.l    ; encoding: [0x7f,0x05,0x0a,0x72]

v_max_num_f16 v5.l, s1, v2.l
// GFX13: v_max_num_f16_e32 v5.l, s1, v2.l        ; encoding: [0x01,0x04,0x0a,0x72]

v_max_num_f16 v5.l, s105, v2.l
// GFX13: v_max_num_f16_e32 v5.l, s105, v2.l      ; encoding: [0x69,0x04,0x0a,0x72]

v_max_num_f16 v5.l, vcc_lo, v2.l
// GFX13: v_max_num_f16_e32 v5.l, vcc_lo, v2.l    ; encoding: [0x6a,0x04,0x0a,0x72]

v_max_num_f16 v5.l, vcc_hi, v2.l
// GFX13: v_max_num_f16_e32 v5.l, vcc_hi, v2.l    ; encoding: [0x6b,0x04,0x0a,0x72]

v_max_num_f16 v5.l, ttmp15, v2.l
// GFX13: v_max_num_f16_e32 v5.l, ttmp15, v2.l    ; encoding: [0x7b,0x04,0x0a,0x72]

v_max_num_f16 v5.l, m0, v2.l
// GFX13: v_max_num_f16_e32 v5.l, m0, v2.l        ; encoding: [0x7d,0x04,0x0a,0x72]

v_max_num_f16 v5.l, exec_lo, v2.l
// GFX13: v_max_num_f16_e32 v5.l, exec_lo, v2.l   ; encoding: [0x7e,0x04,0x0a,0x72]

v_max_num_f16 v5.l, exec_hi, v2.l
// GFX13: v_max_num_f16_e32 v5.l, exec_hi, v2.l   ; encoding: [0x7f,0x04,0x0a,0x72]

v_max_num_f16 v5.l, null, v2.l
// GFX13: v_max_num_f16_e32 v5.l, null, v2.l      ; encoding: [0x7c,0x04,0x0a,0x72]

v_max_num_f16 v5.l, -1, v2.l
// GFX13: v_max_num_f16_e32 v5.l, -1, v2.l        ; encoding: [0xc1,0x04,0x0a,0x72]

v_max_num_f16 v5.l, 0.5, v2.l
// GFX13: v_max_num_f16_e32 v5.l, 0.5, v2.l       ; encoding: [0xf0,0x04,0x0a,0x72]

v_max_num_f16 v5.l, src_scc, v2.l
// GFX13: v_max_num_f16_e32 v5.l, src_scc, v2.l   ; encoding: [0xfd,0x04,0x0a,0x72]

v_max_num_f16 v127.l, 0xfe0b, v127.l
// GFX13: v_max_num_f16_e32 v127.l, 0xfe0b, v127.l ; encoding: [0xff,0xfe,0xfe,0x72,0x0b,0xfe,0x00,0x00]

v_max_num_f32 v5, v1, v2
// GFX13: v_max_num_f32_e32 v5, v1, v2            ; encoding: [0x01,0x05,0x0a,0x20]

v_max_num_f32 v5, v255, v2
// GFX13: v_max_num_f32_e32 v5, v255, v2          ; encoding: [0xff,0x05,0x0a,0x20]

v_max_num_f32 v5, s1, v2
// GFX13: v_max_num_f32_e32 v5, s1, v2            ; encoding: [0x01,0x04,0x0a,0x20]

v_max_num_f32 v5, s105, v2
// GFX13: v_max_num_f32_e32 v5, s105, v2          ; encoding: [0x69,0x04,0x0a,0x20]

v_max_num_f32 v5, vcc_lo, v2
// GFX13: v_max_num_f32_e32 v5, vcc_lo, v2        ; encoding: [0x6a,0x04,0x0a,0x20]

v_max_num_f32 v5, vcc_hi, v2
// GFX13: v_max_num_f32_e32 v5, vcc_hi, v2        ; encoding: [0x6b,0x04,0x0a,0x20]

v_max_num_f32 v5, ttmp15, v2
// GFX13: v_max_num_f32_e32 v5, ttmp15, v2        ; encoding: [0x7b,0x04,0x0a,0x20]

v_max_num_f32 v5, m0, v2
// GFX13: v_max_num_f32_e32 v5, m0, v2            ; encoding: [0x7d,0x04,0x0a,0x20]

v_max_num_f32 v5, exec_lo, v2
// GFX13: v_max_num_f32_e32 v5, exec_lo, v2       ; encoding: [0x7e,0x04,0x0a,0x20]

v_max_num_f32 v5, exec_hi, v2
// GFX13: v_max_num_f32_e32 v5, exec_hi, v2       ; encoding: [0x7f,0x04,0x0a,0x20]

v_max_num_f32 v5, null, v2
// GFX13: v_max_num_f32_e32 v5, null, v2          ; encoding: [0x7c,0x04,0x0a,0x20]

v_max_num_f32 v5, -1, v2
// GFX13: v_max_num_f32_e32 v5, -1, v2            ; encoding: [0xc1,0x04,0x0a,0x20]

v_max_num_f32 v5, 0.5, v2
// GFX13: v_max_num_f32_e32 v5, 0.5, v2           ; encoding: [0xf0,0x04,0x0a,0x20]

v_max_num_f32 v5, src_scc, v2
// GFX13: v_max_num_f32_e32 v5, src_scc, v2       ; encoding: [0xfd,0x04,0x0a,0x20]

v_max_num_f32 v255, 0xaf123456, v255
// GFX13: v_max_num_f32_e32 v255, 0xaf123456, v255 ; encoding: [0xff,0xfe,0xff,0x21,0x56,0x34,0x12,0xaf]

v_max_num_f64 v[5:6], v[1:2], v[3:4]
// GFX13: v_max_num_f64_e32 v[5:6], v[1:2], v[3:4] ; encoding: [0x01,0x07,0x0a,0x1c]

v_max_num_f64 v[5:6], v[254:255], v[2:3]
// GFX13: v_max_num_f64_e32 v[5:6], v[254:255], v[2:3] ; encoding: [0xfe,0x05,0x0a,0x1c]
	;; [unrolled: 3-line block ×4, first 2 shown]

v_max_num_f64 v[5:6], vcc, v[2:3]
// GFX13: v_max_num_f64_e32 v[5:6], vcc, v[2:3]   ; encoding: [0x6a,0x04,0x0a,0x1c]

v_max_num_f64 v[5:6], ttmp[14:15], v[2:3]
// GFX13: v_max_num_f64_e32 v[5:6], ttmp[14:15], v[2:3] ; encoding: [0x7a,0x04,0x0a,0x1c]

v_max_num_f64 v[5:6], exec, v[2:3]
// GFX13: v_max_num_f64_e32 v[5:6], exec, v[2:3]  ; encoding: [0x7e,0x04,0x0a,0x1c]

v_max_num_f64 v[5:6], null, v[2:3]
// GFX13: v_max_num_f64_e32 v[5:6], null, v[2:3]  ; encoding: [0x7c,0x04,0x0a,0x1c]

v_max_num_f64 v[5:6], -1, v[2:3]
// GFX13: v_max_num_f64_e32 v[5:6], -1, v[2:3]    ; encoding: [0xc1,0x04,0x0a,0x1c]

v_max_num_f64 v[5:6], 0.5, v[2:3]
// GFX13: v_max_num_f64_e32 v[5:6], 0.5, v[2:3]   ; encoding: [0xf0,0x04,0x0a,0x1c]

v_max_num_f64 v[5:6], src_scc, v[2:3]
// GFX13: v_max_num_f64_e32 v[5:6], src_scc, v[2:3] ; encoding: [0xfd,0x04,0x0a,0x1c]

v_max_num_f64 v[254:255], 0xaf123456, v[254:255]
// GFX13: v_max_num_f64_e32 v[254:255], 0xaf123456, v[254:255] ; encoding: [0xff,0xfc,0xfd,0x1d,0x56,0x34,0x12,0xaf]

v_max_num_f64 v[254:255], 0x10abcdef12345678, v[254:255]
// GFX13: v_max_num_f64_e32 v[254:255], 0x10abcdef12345678, v[254:255] ; encoding: [0xfe,0xfc,0xfd,0x1d,0x78,0x56,0x34,0x12,0xef,0xcd,0xab,0x10]

v_max_i32 v5, v1, v2
// GFX13: v_max_i32_e32 v5, v1, v2                ; encoding: [0x01,0x05,0x0a,0x24]

v_max_i32 v5, v255, v2
// GFX13: v_max_i32_e32 v5, v255, v2              ; encoding: [0xff,0x05,0x0a,0x24]

v_max_i32 v5, s1, v2
// GFX13: v_max_i32_e32 v5, s1, v2                ; encoding: [0x01,0x04,0x0a,0x24]

v_max_i32 v5, s105, v2
// GFX13: v_max_i32_e32 v5, s105, v2              ; encoding: [0x69,0x04,0x0a,0x24]

v_max_i32 v5, vcc_lo, v2
// GFX13: v_max_i32_e32 v5, vcc_lo, v2            ; encoding: [0x6a,0x04,0x0a,0x24]

v_max_i32 v5, vcc_hi, v2
// GFX13: v_max_i32_e32 v5, vcc_hi, v2            ; encoding: [0x6b,0x04,0x0a,0x24]

v_max_i32 v5, ttmp15, v2
// GFX13: v_max_i32_e32 v5, ttmp15, v2            ; encoding: [0x7b,0x04,0x0a,0x24]

v_max_i32 v5, m0, v2
// GFX13: v_max_i32_e32 v5, m0, v2                ; encoding: [0x7d,0x04,0x0a,0x24]

v_max_i32 v5, exec_lo, v2
// GFX13: v_max_i32_e32 v5, exec_lo, v2           ; encoding: [0x7e,0x04,0x0a,0x24]

v_max_i32 v5, exec_hi, v2
// GFX13: v_max_i32_e32 v5, exec_hi, v2           ; encoding: [0x7f,0x04,0x0a,0x24]

v_max_i32 v5, null, v2
// GFX13: v_max_i32_e32 v5, null, v2              ; encoding: [0x7c,0x04,0x0a,0x24]

v_max_i32 v5, -1, v2
// GFX13: v_max_i32_e32 v5, -1, v2                ; encoding: [0xc1,0x04,0x0a,0x24]

v_max_i32 v5, 0.5, v2
// GFX13: v_max_i32_e32 v5, 0.5, v2               ; encoding: [0xf0,0x04,0x0a,0x24]

v_max_i32 v5, src_scc, v2
// GFX13: v_max_i32_e32 v5, src_scc, v2           ; encoding: [0xfd,0x04,0x0a,0x24]

v_max_i32 v255, 0xaf123456, v255
// GFX13: v_max_i32_e32 v255, 0xaf123456, v255    ; encoding: [0xff,0xfe,0xff,0x25,0x56,0x34,0x12,0xaf]

v_max_u32 v5, v1, v2
// GFX13: v_max_u32_e32 v5, v1, v2                ; encoding: [0x01,0x05,0x0a,0x28]

v_max_u32 v5, v255, v2
// GFX13: v_max_u32_e32 v5, v255, v2              ; encoding: [0xff,0x05,0x0a,0x28]

v_max_u32 v5, s1, v2
// GFX13: v_max_u32_e32 v5, s1, v2                ; encoding: [0x01,0x04,0x0a,0x28]

v_max_u32 v5, s105, v2
// GFX13: v_max_u32_e32 v5, s105, v2              ; encoding: [0x69,0x04,0x0a,0x28]

v_max_u32 v5, vcc_lo, v2
// GFX13: v_max_u32_e32 v5, vcc_lo, v2            ; encoding: [0x6a,0x04,0x0a,0x28]

v_max_u32 v5, vcc_hi, v2
// GFX13: v_max_u32_e32 v5, vcc_hi, v2            ; encoding: [0x6b,0x04,0x0a,0x28]

v_max_u32 v5, ttmp15, v2
// GFX13: v_max_u32_e32 v5, ttmp15, v2            ; encoding: [0x7b,0x04,0x0a,0x28]

v_max_u32 v5, m0, v2
// GFX13: v_max_u32_e32 v5, m0, v2                ; encoding: [0x7d,0x04,0x0a,0x28]

v_max_u32 v5, exec_lo, v2
// GFX13: v_max_u32_e32 v5, exec_lo, v2           ; encoding: [0x7e,0x04,0x0a,0x28]

v_max_u32 v5, exec_hi, v2
// GFX13: v_max_u32_e32 v5, exec_hi, v2           ; encoding: [0x7f,0x04,0x0a,0x28]

v_max_u32 v5, null, v2
// GFX13: v_max_u32_e32 v5, null, v2              ; encoding: [0x7c,0x04,0x0a,0x28]

v_max_u32 v5, -1, v2
// GFX13: v_max_u32_e32 v5, -1, v2                ; encoding: [0xc1,0x04,0x0a,0x28]

v_max_u32 v5, 0.5, v2
// GFX13: v_max_u32_e32 v5, 0.5, v2               ; encoding: [0xf0,0x04,0x0a,0x28]

v_max_u32 v5, src_scc, v2
// GFX13: v_max_u32_e32 v5, src_scc, v2           ; encoding: [0xfd,0x04,0x0a,0x28]

v_max_u32 v255, 0xaf123456, v255
// GFX13: v_max_u32_e32 v255, 0xaf123456, v255    ; encoding: [0xff,0xfe,0xff,0x29,0x56,0x34,0x12,0xaf]

v_min_num_f16 v5.l, v1.l, v2.l
// GFX13: v_min_num_f16_e32 v5.l, v1.l, v2.l      ; encoding: [0x01,0x05,0x0a,0x74]

v_min_num_f16 v5.l, v127.l, v2.l
// GFX13: v_min_num_f16_e32 v5.l, v127.l, v2.l    ; encoding: [0x7f,0x05,0x0a,0x74]

v_min_num_f16 v5.l, s1, v2.l
// GFX13: v_min_num_f16_e32 v5.l, s1, v2.l        ; encoding: [0x01,0x04,0x0a,0x74]

v_min_num_f16 v5.l, s105, v2.l
// GFX13: v_min_num_f16_e32 v5.l, s105, v2.l      ; encoding: [0x69,0x04,0x0a,0x74]

v_min_num_f16 v5.l, vcc_lo, v2.l
// GFX13: v_min_num_f16_e32 v5.l, vcc_lo, v2.l    ; encoding: [0x6a,0x04,0x0a,0x74]

v_min_num_f16 v5.l, vcc_hi, v2.l
// GFX13: v_min_num_f16_e32 v5.l, vcc_hi, v2.l    ; encoding: [0x6b,0x04,0x0a,0x74]

v_min_num_f16 v5.l, ttmp15, v2.l
// GFX13: v_min_num_f16_e32 v5.l, ttmp15, v2.l    ; encoding: [0x7b,0x04,0x0a,0x74]

v_min_num_f16 v5.l, m0, v2.l
// GFX13: v_min_num_f16_e32 v5.l, m0, v2.l        ; encoding: [0x7d,0x04,0x0a,0x74]

v_min_num_f16 v5.l, exec_lo, v2.l
// GFX13: v_min_num_f16_e32 v5.l, exec_lo, v2.l   ; encoding: [0x7e,0x04,0x0a,0x74]

v_min_num_f16 v5.l, exec_hi, v2.l
// GFX13: v_min_num_f16_e32 v5.l, exec_hi, v2.l   ; encoding: [0x7f,0x04,0x0a,0x74]

v_min_num_f16 v5.l, null, v2.l
// GFX13: v_min_num_f16_e32 v5.l, null, v2.l      ; encoding: [0x7c,0x04,0x0a,0x74]

v_min_num_f16 v5.l, -1, v2.l
// GFX13: v_min_num_f16_e32 v5.l, -1, v2.l        ; encoding: [0xc1,0x04,0x0a,0x74]

v_min_num_f16 v5.l, 0.5, v2.l
// GFX13: v_min_num_f16_e32 v5.l, 0.5, v2.l       ; encoding: [0xf0,0x04,0x0a,0x74]

v_min_num_f16 v5.l, src_scc, v2.l
// GFX13: v_min_num_f16_e32 v5.l, src_scc, v2.l   ; encoding: [0xfd,0x04,0x0a,0x74]

v_min_num_f16 v127.l, 0xfe0b, v127.l
// GFX13: v_min_num_f16_e32 v127.l, 0xfe0b, v127.l ; encoding: [0xff,0xfe,0xfe,0x74,0x0b,0xfe,0x00,0x00]

v_min_num_f32 v5, v1, v2
// GFX13: v_min_num_f32_e32 v5, v1, v2            ; encoding: [0x01,0x05,0x0a,0x1e]

v_min_num_f32 v5, v255, v2
// GFX13: v_min_num_f32_e32 v5, v255, v2          ; encoding: [0xff,0x05,0x0a,0x1e]

v_min_num_f32 v5, s1, v2
// GFX13: v_min_num_f32_e32 v5, s1, v2            ; encoding: [0x01,0x04,0x0a,0x1e]

v_min_num_f32 v5, s105, v2
// GFX13: v_min_num_f32_e32 v5, s105, v2          ; encoding: [0x69,0x04,0x0a,0x1e]

v_min_num_f32 v5, vcc_lo, v2
// GFX13: v_min_num_f32_e32 v5, vcc_lo, v2        ; encoding: [0x6a,0x04,0x0a,0x1e]

v_min_num_f32 v5, vcc_hi, v2
// GFX13: v_min_num_f32_e32 v5, vcc_hi, v2        ; encoding: [0x6b,0x04,0x0a,0x1e]

v_min_num_f32 v5, ttmp15, v2
// GFX13: v_min_num_f32_e32 v5, ttmp15, v2        ; encoding: [0x7b,0x04,0x0a,0x1e]

v_min_num_f32 v5, m0, v2
// GFX13: v_min_num_f32_e32 v5, m0, v2            ; encoding: [0x7d,0x04,0x0a,0x1e]

v_min_num_f32 v5, exec_lo, v2
// GFX13: v_min_num_f32_e32 v5, exec_lo, v2       ; encoding: [0x7e,0x04,0x0a,0x1e]

v_min_num_f32 v5, exec_hi, v2
// GFX13: v_min_num_f32_e32 v5, exec_hi, v2       ; encoding: [0x7f,0x04,0x0a,0x1e]

v_min_num_f32 v5, null, v2
// GFX13: v_min_num_f32_e32 v5, null, v2          ; encoding: [0x7c,0x04,0x0a,0x1e]

v_min_num_f32 v5, -1, v2
// GFX13: v_min_num_f32_e32 v5, -1, v2            ; encoding: [0xc1,0x04,0x0a,0x1e]

v_min_num_f32 v5, 0.5, v2
// GFX13: v_min_num_f32_e32 v5, 0.5, v2           ; encoding: [0xf0,0x04,0x0a,0x1e]

v_min_num_f32 v5, src_scc, v2
// GFX13: v_min_num_f32_e32 v5, src_scc, v2       ; encoding: [0xfd,0x04,0x0a,0x1e]

v_min_num_f32 v255, 0xaf123456, v255
// GFX13: v_min_num_f32_e32 v255, 0xaf123456, v255 ; encoding: [0xff,0xfe,0xff,0x1f,0x56,0x34,0x12,0xaf]

v_min_num_f64 v[5:6], v[1:2], v[3:4]
// GFX13: v_min_num_f64_e32 v[5:6], v[1:2], v[3:4] ; encoding: [0x01,0x07,0x0a,0x1a]

v_min_num_f64 v[5:6], v[254:255], v[2:3]
// GFX13: v_min_num_f64_e32 v[5:6], v[254:255], v[2:3] ; encoding: [0xfe,0x05,0x0a,0x1a]
	;; [unrolled: 3-line block ×4, first 2 shown]

v_min_num_f64 v[5:6], vcc, v[2:3]
// GFX13: v_min_num_f64_e32 v[5:6], vcc, v[2:3]   ; encoding: [0x6a,0x04,0x0a,0x1a]

v_min_num_f64 v[5:6], ttmp[14:15], v[2:3]
// GFX13: v_min_num_f64_e32 v[5:6], ttmp[14:15], v[2:3] ; encoding: [0x7a,0x04,0x0a,0x1a]

v_min_num_f64 v[5:6], exec, v[2:3]
// GFX13: v_min_num_f64_e32 v[5:6], exec, v[2:3]  ; encoding: [0x7e,0x04,0x0a,0x1a]

v_min_num_f64 v[5:6], null, v[2:3]
// GFX13: v_min_num_f64_e32 v[5:6], null, v[2:3]  ; encoding: [0x7c,0x04,0x0a,0x1a]

v_min_num_f64 v[5:6], -1, v[2:3]
// GFX13: v_min_num_f64_e32 v[5:6], -1, v[2:3]    ; encoding: [0xc1,0x04,0x0a,0x1a]

v_min_num_f64 v[5:6], 0.5, v[2:3]
// GFX13: v_min_num_f64_e32 v[5:6], 0.5, v[2:3]   ; encoding: [0xf0,0x04,0x0a,0x1a]

v_min_num_f64 v[5:6], src_scc, v[2:3]
// GFX13: v_min_num_f64_e32 v[5:6], src_scc, v[2:3] ; encoding: [0xfd,0x04,0x0a,0x1a]

v_min_num_f64 v[254:255], 0xaf123456, v[254:255]
// GFX13: v_min_num_f64_e32 v[254:255], 0xaf123456, v[254:255] ; encoding: [0xff,0xfc,0xfd,0x1b,0x56,0x34,0x12,0xaf]

v_min_num_f64 v[254:255], 0x10abcdef12345678, v[254:255]
// GFX13: v_min_num_f64_e32 v[254:255], 0x10abcdef12345678, v[254:255] ; encoding: [0xfe,0xfc,0xfd,0x1b,0x78,0x56,0x34,0x12,0xef,0xcd,0xab,0x10]

v_min_i32 v5, v1, v2
// GFX13: v_min_i32_e32 v5, v1, v2                ; encoding: [0x01,0x05,0x0a,0x22]

v_min_i32 v5, v255, v2
// GFX13: v_min_i32_e32 v5, v255, v2              ; encoding: [0xff,0x05,0x0a,0x22]

v_min_i32 v5, s1, v2
// GFX13: v_min_i32_e32 v5, s1, v2                ; encoding: [0x01,0x04,0x0a,0x22]

v_min_i32 v5, s105, v2
// GFX13: v_min_i32_e32 v5, s105, v2              ; encoding: [0x69,0x04,0x0a,0x22]

v_min_i32 v5, vcc_lo, v2
// GFX13: v_min_i32_e32 v5, vcc_lo, v2            ; encoding: [0x6a,0x04,0x0a,0x22]

v_min_i32 v5, vcc_hi, v2
// GFX13: v_min_i32_e32 v5, vcc_hi, v2            ; encoding: [0x6b,0x04,0x0a,0x22]

v_min_i32 v5, ttmp15, v2
// GFX13: v_min_i32_e32 v5, ttmp15, v2            ; encoding: [0x7b,0x04,0x0a,0x22]

v_min_i32 v5, m0, v2
// GFX13: v_min_i32_e32 v5, m0, v2                ; encoding: [0x7d,0x04,0x0a,0x22]

v_min_i32 v5, exec_lo, v2
// GFX13: v_min_i32_e32 v5, exec_lo, v2           ; encoding: [0x7e,0x04,0x0a,0x22]

v_min_i32 v5, exec_hi, v2
// GFX13: v_min_i32_e32 v5, exec_hi, v2           ; encoding: [0x7f,0x04,0x0a,0x22]

v_min_i32 v5, null, v2
// GFX13: v_min_i32_e32 v5, null, v2              ; encoding: [0x7c,0x04,0x0a,0x22]

v_min_i32 v5, -1, v2
// GFX13: v_min_i32_e32 v5, -1, v2                ; encoding: [0xc1,0x04,0x0a,0x22]

v_min_i32 v5, 0.5, v2
// GFX13: v_min_i32_e32 v5, 0.5, v2               ; encoding: [0xf0,0x04,0x0a,0x22]

v_min_i32 v5, src_scc, v2
// GFX13: v_min_i32_e32 v5, src_scc, v2           ; encoding: [0xfd,0x04,0x0a,0x22]

v_min_i32 v255, 0xaf123456, v255
// GFX13: v_min_i32_e32 v255, 0xaf123456, v255    ; encoding: [0xff,0xfe,0xff,0x23,0x56,0x34,0x12,0xaf]

v_min_u32 v5, v1, v2
// GFX13: v_min_u32_e32 v5, v1, v2                ; encoding: [0x01,0x05,0x0a,0x26]

v_min_u32 v5, v255, v2
// GFX13: v_min_u32_e32 v5, v255, v2              ; encoding: [0xff,0x05,0x0a,0x26]

v_min_u32 v5, s1, v2
// GFX13: v_min_u32_e32 v5, s1, v2                ; encoding: [0x01,0x04,0x0a,0x26]

v_min_u32 v5, s105, v2
// GFX13: v_min_u32_e32 v5, s105, v2              ; encoding: [0x69,0x04,0x0a,0x26]

v_min_u32 v5, vcc_lo, v2
// GFX13: v_min_u32_e32 v5, vcc_lo, v2            ; encoding: [0x6a,0x04,0x0a,0x26]

v_min_u32 v5, vcc_hi, v2
// GFX13: v_min_u32_e32 v5, vcc_hi, v2            ; encoding: [0x6b,0x04,0x0a,0x26]

v_min_u32 v5, ttmp15, v2
// GFX13: v_min_u32_e32 v5, ttmp15, v2            ; encoding: [0x7b,0x04,0x0a,0x26]

v_min_u32 v5, m0, v2
// GFX13: v_min_u32_e32 v5, m0, v2                ; encoding: [0x7d,0x04,0x0a,0x26]

v_min_u32 v5, exec_lo, v2
// GFX13: v_min_u32_e32 v5, exec_lo, v2           ; encoding: [0x7e,0x04,0x0a,0x26]

v_min_u32 v5, exec_hi, v2
// GFX13: v_min_u32_e32 v5, exec_hi, v2           ; encoding: [0x7f,0x04,0x0a,0x26]

v_min_u32 v5, null, v2
// GFX13: v_min_u32_e32 v5, null, v2              ; encoding: [0x7c,0x04,0x0a,0x26]

v_min_u32 v5, -1, v2
// GFX13: v_min_u32_e32 v5, -1, v2                ; encoding: [0xc1,0x04,0x0a,0x26]

v_min_u32 v5, 0.5, v2
// GFX13: v_min_u32_e32 v5, 0.5, v2               ; encoding: [0xf0,0x04,0x0a,0x26]

v_min_u32 v5, src_scc, v2
// GFX13: v_min_u32_e32 v5, src_scc, v2           ; encoding: [0xfd,0x04,0x0a,0x26]

v_min_u32 v255, 0xaf123456, v255
// GFX13: v_min_u32_e32 v255, 0xaf123456, v255    ; encoding: [0xff,0xfe,0xff,0x27,0x56,0x34,0x12,0xaf]

v_mul_dx9_zero_f32 v5, v1, v2
// GFX13: v_mul_dx9_zero_f32_e32 v5, v1, v2       ; encoding: [0x01,0x05,0x0a,0x0e]

v_mul_dx9_zero_f32 v5, v255, v2
// GFX13: v_mul_dx9_zero_f32_e32 v5, v255, v2     ; encoding: [0xff,0x05,0x0a,0x0e]

v_mul_dx9_zero_f32 v5, s1, v2
// GFX13: v_mul_dx9_zero_f32_e32 v5, s1, v2       ; encoding: [0x01,0x04,0x0a,0x0e]

v_mul_dx9_zero_f32 v5, s105, v2
// GFX13: v_mul_dx9_zero_f32_e32 v5, s105, v2     ; encoding: [0x69,0x04,0x0a,0x0e]

v_mul_dx9_zero_f32 v5, vcc_lo, v2
// GFX13: v_mul_dx9_zero_f32_e32 v5, vcc_lo, v2   ; encoding: [0x6a,0x04,0x0a,0x0e]

v_mul_dx9_zero_f32 v5, vcc_hi, v2
// GFX13: v_mul_dx9_zero_f32_e32 v5, vcc_hi, v2   ; encoding: [0x6b,0x04,0x0a,0x0e]

v_mul_dx9_zero_f32 v5, ttmp15, v2
// GFX13: v_mul_dx9_zero_f32_e32 v5, ttmp15, v2   ; encoding: [0x7b,0x04,0x0a,0x0e]

v_mul_dx9_zero_f32 v5, m0, v2
// GFX13: v_mul_dx9_zero_f32_e32 v5, m0, v2       ; encoding: [0x7d,0x04,0x0a,0x0e]

v_mul_dx9_zero_f32 v5, exec_lo, v2
// GFX13: v_mul_dx9_zero_f32_e32 v5, exec_lo, v2  ; encoding: [0x7e,0x04,0x0a,0x0e]

v_mul_dx9_zero_f32 v5, exec_hi, v2
// GFX13: v_mul_dx9_zero_f32_e32 v5, exec_hi, v2  ; encoding: [0x7f,0x04,0x0a,0x0e]

v_mul_dx9_zero_f32 v5, null, v2
// GFX13: v_mul_dx9_zero_f32_e32 v5, null, v2     ; encoding: [0x7c,0x04,0x0a,0x0e]

v_mul_dx9_zero_f32 v5, -1, v2
// GFX13: v_mul_dx9_zero_f32_e32 v5, -1, v2       ; encoding: [0xc1,0x04,0x0a,0x0e]

v_mul_dx9_zero_f32 v5, 0.5, v2
// GFX13: v_mul_dx9_zero_f32_e32 v5, 0.5, v2      ; encoding: [0xf0,0x04,0x0a,0x0e]

v_mul_dx9_zero_f32 v5, src_scc, v2
// GFX13: v_mul_dx9_zero_f32_e32 v5, src_scc, v2  ; encoding: [0xfd,0x04,0x0a,0x0e]

v_mul_dx9_zero_f32 v255, 0xaf123456, v255
// GFX13: v_mul_dx9_zero_f32_e32 v255, 0xaf123456, v255 ; encoding: [0xff,0xfe,0xff,0x0f,0x56,0x34,0x12,0xaf]

v_mul_f16 v5.l, v1.l, v2.l
// GFX13: v_mul_f16_e32 v5.l, v1.l, v2.l          ; encoding: [0x01,0x05,0x0a,0x6a]

v_mul_f16 v5.l, v127.l, v2.l
// GFX13: v_mul_f16_e32 v5.l, v127.l, v2.l        ; encoding: [0x7f,0x05,0x0a,0x6a]

v_mul_f16 v5.l, s1, v2.l
// GFX13: v_mul_f16_e32 v5.l, s1, v2.l            ; encoding: [0x01,0x04,0x0a,0x6a]

v_mul_f16 v5.l, s105, v2.l
// GFX13: v_mul_f16_e32 v5.l, s105, v2.l          ; encoding: [0x69,0x04,0x0a,0x6a]

v_mul_f16 v5.l, vcc_lo, v2.l
// GFX13: v_mul_f16_e32 v5.l, vcc_lo, v2.l        ; encoding: [0x6a,0x04,0x0a,0x6a]

v_mul_f16 v5.l, vcc_hi, v2.l
// GFX13: v_mul_f16_e32 v5.l, vcc_hi, v2.l        ; encoding: [0x6b,0x04,0x0a,0x6a]

v_mul_f16 v5.l, ttmp15, v2.l
// GFX13: v_mul_f16_e32 v5.l, ttmp15, v2.l        ; encoding: [0x7b,0x04,0x0a,0x6a]

v_mul_f16 v5.l, m0, v2.l
// GFX13: v_mul_f16_e32 v5.l, m0, v2.l            ; encoding: [0x7d,0x04,0x0a,0x6a]

v_mul_f16 v5.l, exec_lo, v2.l
// GFX13: v_mul_f16_e32 v5.l, exec_lo, v2.l       ; encoding: [0x7e,0x04,0x0a,0x6a]

v_mul_f16 v5.l, exec_hi, v2.l
// GFX13: v_mul_f16_e32 v5.l, exec_hi, v2.l       ; encoding: [0x7f,0x04,0x0a,0x6a]

v_mul_f16 v5.l, null, v2.l
// GFX13: v_mul_f16_e32 v5.l, null, v2.l          ; encoding: [0x7c,0x04,0x0a,0x6a]

v_mul_f16 v5.l, -1, v2.l
// GFX13: v_mul_f16_e32 v5.l, -1, v2.l            ; encoding: [0xc1,0x04,0x0a,0x6a]

v_mul_f16 v5.l, 0.5, v2.l
// GFX13: v_mul_f16_e32 v5.l, 0.5, v2.l           ; encoding: [0xf0,0x04,0x0a,0x6a]

v_mul_f16 v5.l, src_scc, v2.l
// GFX13: v_mul_f16_e32 v5.l, src_scc, v2.l       ; encoding: [0xfd,0x04,0x0a,0x6a]

v_mul_f16 v127.l, 0xfe0b, v127.l
// GFX13: v_mul_f16_e32 v127.l, 0xfe0b, v127.l    ; encoding: [0xff,0xfe,0xfe,0x6a,0x0b,0xfe,0x00,0x00]

v_mul_f32 v5, v1, v2
// GFX13: v_mul_f32_e32 v5, v1, v2                ; encoding: [0x01,0x05,0x0a,0x10]

v_mul_f32 v5, v255, v2
// GFX13: v_mul_f32_e32 v5, v255, v2              ; encoding: [0xff,0x05,0x0a,0x10]

v_mul_f32 v5, s1, v2
// GFX13: v_mul_f32_e32 v5, s1, v2                ; encoding: [0x01,0x04,0x0a,0x10]

v_mul_f32 v5, s105, v2
// GFX13: v_mul_f32_e32 v5, s105, v2              ; encoding: [0x69,0x04,0x0a,0x10]

v_mul_f32 v5, vcc_lo, v2
// GFX13: v_mul_f32_e32 v5, vcc_lo, v2            ; encoding: [0x6a,0x04,0x0a,0x10]

v_mul_f32 v5, vcc_hi, v2
// GFX13: v_mul_f32_e32 v5, vcc_hi, v2            ; encoding: [0x6b,0x04,0x0a,0x10]

v_mul_f32 v5, ttmp15, v2
// GFX13: v_mul_f32_e32 v5, ttmp15, v2            ; encoding: [0x7b,0x04,0x0a,0x10]

v_mul_f32 v5, m0, v2
// GFX13: v_mul_f32_e32 v5, m0, v2                ; encoding: [0x7d,0x04,0x0a,0x10]

v_mul_f32 v5, exec_lo, v2
// GFX13: v_mul_f32_e32 v5, exec_lo, v2           ; encoding: [0x7e,0x04,0x0a,0x10]

v_mul_f32 v5, exec_hi, v2
// GFX13: v_mul_f32_e32 v5, exec_hi, v2           ; encoding: [0x7f,0x04,0x0a,0x10]

v_mul_f32 v5, null, v2
// GFX13: v_mul_f32_e32 v5, null, v2              ; encoding: [0x7c,0x04,0x0a,0x10]

v_mul_f32 v5, -1, v2
// GFX13: v_mul_f32_e32 v5, -1, v2                ; encoding: [0xc1,0x04,0x0a,0x10]

v_mul_f32 v5, 0.5, v2
// GFX13: v_mul_f32_e32 v5, 0.5, v2               ; encoding: [0xf0,0x04,0x0a,0x10]

v_mul_f32 v5, src_scc, v2
// GFX13: v_mul_f32_e32 v5, src_scc, v2           ; encoding: [0xfd,0x04,0x0a,0x10]

v_mul_f32 v255, 0xaf123456, v255
// GFX13: v_mul_f32_e32 v255, 0xaf123456, v255    ; encoding: [0xff,0xfe,0xff,0x11,0x56,0x34,0x12,0xaf]

v_mul_f64 v[5:6], v[1:2], v[3:4]
// GFX13: v_mul_f64_e32 v[5:6], v[1:2], v[3:4]    ; encoding: [0x01,0x07,0x0a,0x0c]

v_mul_f64 v[5:6], v[254:255], v[2:3]
// GFX13: v_mul_f64_e32 v[5:6], v[254:255], v[2:3] ; encoding: [0xfe,0x05,0x0a,0x0c]

v_mul_f64 v[5:6], s[0:1], v[2:3]
// GFX13: v_mul_f64_e32 v[5:6], s[0:1], v[2:3]    ; encoding: [0x00,0x04,0x0a,0x0c]

v_mul_f64 v[5:6], s[104:105], v[2:3]
// GFX13: v_mul_f64_e32 v[5:6], s[104:105], v[2:3] ; encoding: [0x68,0x04,0x0a,0x0c]

v_mul_f64 v[5:6], vcc, v[2:3]
// GFX13: v_mul_f64_e32 v[5:6], vcc, v[2:3]       ; encoding: [0x6a,0x04,0x0a,0x0c]

v_mul_f64 v[5:6], ttmp[14:15], v[2:3]
// GFX13: v_mul_f64_e32 v[5:6], ttmp[14:15], v[2:3] ; encoding: [0x7a,0x04,0x0a,0x0c]

v_mul_f64 v[5:6], exec, v[2:3]
// GFX13: v_mul_f64_e32 v[5:6], exec, v[2:3]      ; encoding: [0x7e,0x04,0x0a,0x0c]

v_mul_f64 v[5:6], null, v[2:3]
// GFX13: v_mul_f64_e32 v[5:6], null, v[2:3]      ; encoding: [0x7c,0x04,0x0a,0x0c]

v_mul_f64 v[5:6], -1, v[2:3]
// GFX13: v_mul_f64_e32 v[5:6], -1, v[2:3]        ; encoding: [0xc1,0x04,0x0a,0x0c]

v_mul_f64 v[5:6], 0.5, v[2:3]
// GFX13: v_mul_f64_e32 v[5:6], 0.5, v[2:3]       ; encoding: [0xf0,0x04,0x0a,0x0c]

v_mul_f64 v[5:6], src_scc, v[2:3]
// GFX13: v_mul_f64_e32 v[5:6], src_scc, v[2:3]   ; encoding: [0xfd,0x04,0x0a,0x0c]

v_mul_f64 v[254:255], 0xaf123456, v[254:255]
// GFX13: v_mul_f64_e32 v[254:255], 0xaf123456, v[254:255] ; encoding: [0xff,0xfc,0xfd,0x0d,0x56,0x34,0x12,0xaf]

v_mul_f64 v[254:255], 0x10abcdef12345678, v[254:255]
// GFX13: v_mul_f64_e32 v[254:255], 0x10abcdef12345678, v[254:255] ; encoding: [0xfe,0xfc,0xfd,0x0d,0x78,0x56,0x34,0x12,0xef,0xcd,0xab,0x10]

v_mul_hi_i32_i24 v5, v1, v2
// GFX13: v_mul_hi_i32_i24_e32 v5, v1, v2         ; encoding: [0x01,0x05,0x0a,0x14]

v_mul_hi_i32_i24 v5, v255, v2
// GFX13: v_mul_hi_i32_i24_e32 v5, v255, v2       ; encoding: [0xff,0x05,0x0a,0x14]

v_mul_hi_i32_i24 v5, s1, v2
// GFX13: v_mul_hi_i32_i24_e32 v5, s1, v2         ; encoding: [0x01,0x04,0x0a,0x14]

v_mul_hi_i32_i24 v5, s105, v2
// GFX13: v_mul_hi_i32_i24_e32 v5, s105, v2       ; encoding: [0x69,0x04,0x0a,0x14]

v_mul_hi_i32_i24 v5, vcc_lo, v2
// GFX13: v_mul_hi_i32_i24_e32 v5, vcc_lo, v2     ; encoding: [0x6a,0x04,0x0a,0x14]

v_mul_hi_i32_i24 v5, vcc_hi, v2
// GFX13: v_mul_hi_i32_i24_e32 v5, vcc_hi, v2     ; encoding: [0x6b,0x04,0x0a,0x14]

v_mul_hi_i32_i24 v5, ttmp15, v2
// GFX13: v_mul_hi_i32_i24_e32 v5, ttmp15, v2     ; encoding: [0x7b,0x04,0x0a,0x14]

v_mul_hi_i32_i24 v5, m0, v2
// GFX13: v_mul_hi_i32_i24_e32 v5, m0, v2         ; encoding: [0x7d,0x04,0x0a,0x14]

v_mul_hi_i32_i24 v5, exec_lo, v2
// GFX13: v_mul_hi_i32_i24_e32 v5, exec_lo, v2    ; encoding: [0x7e,0x04,0x0a,0x14]

v_mul_hi_i32_i24 v5, exec_hi, v2
// GFX13: v_mul_hi_i32_i24_e32 v5, exec_hi, v2    ; encoding: [0x7f,0x04,0x0a,0x14]

v_mul_hi_i32_i24 v5, null, v2
// GFX13: v_mul_hi_i32_i24_e32 v5, null, v2       ; encoding: [0x7c,0x04,0x0a,0x14]

v_mul_hi_i32_i24 v5, -1, v2
// GFX13: v_mul_hi_i32_i24_e32 v5, -1, v2         ; encoding: [0xc1,0x04,0x0a,0x14]

v_mul_hi_i32_i24 v5, 0.5, v2
// GFX13: v_mul_hi_i32_i24_e32 v5, 0.5, v2        ; encoding: [0xf0,0x04,0x0a,0x14]

v_mul_hi_i32_i24 v5, src_scc, v2
// GFX13: v_mul_hi_i32_i24_e32 v5, src_scc, v2    ; encoding: [0xfd,0x04,0x0a,0x14]

v_mul_hi_i32_i24 v255, 0xaf123456, v255
// GFX13: v_mul_hi_i32_i24_e32 v255, 0xaf123456, v255 ; encoding: [0xff,0xfe,0xff,0x15,0x56,0x34,0x12,0xaf]

v_mul_hi_u32_u24 v5, v1, v2
// GFX13: v_mul_hi_u32_u24_e32 v5, v1, v2         ; encoding: [0x01,0x05,0x0a,0x18]

v_mul_hi_u32_u24 v5, v255, v2
// GFX13: v_mul_hi_u32_u24_e32 v5, v255, v2       ; encoding: [0xff,0x05,0x0a,0x18]

v_mul_hi_u32_u24 v5, s1, v2
// GFX13: v_mul_hi_u32_u24_e32 v5, s1, v2         ; encoding: [0x01,0x04,0x0a,0x18]

v_mul_hi_u32_u24 v5, s105, v2
// GFX13: v_mul_hi_u32_u24_e32 v5, s105, v2       ; encoding: [0x69,0x04,0x0a,0x18]

v_mul_hi_u32_u24 v5, vcc_lo, v2
// GFX13: v_mul_hi_u32_u24_e32 v5, vcc_lo, v2     ; encoding: [0x6a,0x04,0x0a,0x18]

v_mul_hi_u32_u24 v5, vcc_hi, v2
// GFX13: v_mul_hi_u32_u24_e32 v5, vcc_hi, v2     ; encoding: [0x6b,0x04,0x0a,0x18]

v_mul_hi_u32_u24 v5, ttmp15, v2
// GFX13: v_mul_hi_u32_u24_e32 v5, ttmp15, v2     ; encoding: [0x7b,0x04,0x0a,0x18]

v_mul_hi_u32_u24 v5, m0, v2
// GFX13: v_mul_hi_u32_u24_e32 v5, m0, v2         ; encoding: [0x7d,0x04,0x0a,0x18]

v_mul_hi_u32_u24 v5, exec_lo, v2
// GFX13: v_mul_hi_u32_u24_e32 v5, exec_lo, v2    ; encoding: [0x7e,0x04,0x0a,0x18]

v_mul_hi_u32_u24 v5, exec_hi, v2
// GFX13: v_mul_hi_u32_u24_e32 v5, exec_hi, v2    ; encoding: [0x7f,0x04,0x0a,0x18]

v_mul_hi_u32_u24 v5, null, v2
// GFX13: v_mul_hi_u32_u24_e32 v5, null, v2       ; encoding: [0x7c,0x04,0x0a,0x18]

v_mul_hi_u32_u24 v5, -1, v2
// GFX13: v_mul_hi_u32_u24_e32 v5, -1, v2         ; encoding: [0xc1,0x04,0x0a,0x18]

v_mul_hi_u32_u24 v5, 0.5, v2
// GFX13: v_mul_hi_u32_u24_e32 v5, 0.5, v2        ; encoding: [0xf0,0x04,0x0a,0x18]

v_mul_hi_u32_u24 v5, src_scc, v2
// GFX13: v_mul_hi_u32_u24_e32 v5, src_scc, v2    ; encoding: [0xfd,0x04,0x0a,0x18]

v_mul_hi_u32_u24 v255, 0xaf123456, v255
// GFX13: v_mul_hi_u32_u24_e32 v255, 0xaf123456, v255 ; encoding: [0xff,0xfe,0xff,0x19,0x56,0x34,0x12,0xaf]

v_mul_i32_i24 v5, v1, v2
// GFX13: v_mul_i32_i24_e32 v5, v1, v2            ; encoding: [0x01,0x05,0x0a,0x12]

v_mul_i32_i24 v5, v255, v2
// GFX13: v_mul_i32_i24_e32 v5, v255, v2          ; encoding: [0xff,0x05,0x0a,0x12]

v_mul_i32_i24 v5, s1, v2
// GFX13: v_mul_i32_i24_e32 v5, s1, v2            ; encoding: [0x01,0x04,0x0a,0x12]

v_mul_i32_i24 v5, s105, v2
// GFX13: v_mul_i32_i24_e32 v5, s105, v2          ; encoding: [0x69,0x04,0x0a,0x12]

v_mul_i32_i24 v5, vcc_lo, v2
// GFX13: v_mul_i32_i24_e32 v5, vcc_lo, v2        ; encoding: [0x6a,0x04,0x0a,0x12]

v_mul_i32_i24 v5, vcc_hi, v2
// GFX13: v_mul_i32_i24_e32 v5, vcc_hi, v2        ; encoding: [0x6b,0x04,0x0a,0x12]

v_mul_i32_i24 v5, ttmp15, v2
// GFX13: v_mul_i32_i24_e32 v5, ttmp15, v2        ; encoding: [0x7b,0x04,0x0a,0x12]

v_mul_i32_i24 v5, m0, v2
// GFX13: v_mul_i32_i24_e32 v5, m0, v2            ; encoding: [0x7d,0x04,0x0a,0x12]

v_mul_i32_i24 v5, exec_lo, v2
// GFX13: v_mul_i32_i24_e32 v5, exec_lo, v2       ; encoding: [0x7e,0x04,0x0a,0x12]

v_mul_i32_i24 v5, exec_hi, v2
// GFX13: v_mul_i32_i24_e32 v5, exec_hi, v2       ; encoding: [0x7f,0x04,0x0a,0x12]

v_mul_i32_i24 v5, null, v2
// GFX13: v_mul_i32_i24_e32 v5, null, v2          ; encoding: [0x7c,0x04,0x0a,0x12]

v_mul_i32_i24 v5, -1, v2
// GFX13: v_mul_i32_i24_e32 v5, -1, v2            ; encoding: [0xc1,0x04,0x0a,0x12]

v_mul_i32_i24 v5, 0.5, v2
// GFX13: v_mul_i32_i24_e32 v5, 0.5, v2           ; encoding: [0xf0,0x04,0x0a,0x12]

v_mul_i32_i24 v5, src_scc, v2
// GFX13: v_mul_i32_i24_e32 v5, src_scc, v2       ; encoding: [0xfd,0x04,0x0a,0x12]

v_mul_i32_i24 v255, 0xaf123456, v255
// GFX13: v_mul_i32_i24_e32 v255, 0xaf123456, v255 ; encoding: [0xff,0xfe,0xff,0x13,0x56,0x34,0x12,0xaf]

v_mul_legacy_f32 v5, v1, v2
// GFX13: v_mul_dx9_zero_f32_e32 v5, v1, v2       ; encoding: [0x01,0x05,0x0a,0x0e]

v_mul_legacy_f32 v5, v255, v2
// GFX13: v_mul_dx9_zero_f32_e32 v5, v255, v2     ; encoding: [0xff,0x05,0x0a,0x0e]

v_mul_legacy_f32 v5, s1, v2
// GFX13: v_mul_dx9_zero_f32_e32 v5, s1, v2       ; encoding: [0x01,0x04,0x0a,0x0e]

v_mul_legacy_f32 v5, s105, v2
// GFX13: v_mul_dx9_zero_f32_e32 v5, s105, v2     ; encoding: [0x69,0x04,0x0a,0x0e]

v_mul_legacy_f32 v5, vcc_lo, v2
// GFX13: v_mul_dx9_zero_f32_e32 v5, vcc_lo, v2   ; encoding: [0x6a,0x04,0x0a,0x0e]

v_mul_legacy_f32 v5, vcc_hi, v2
// GFX13: v_mul_dx9_zero_f32_e32 v5, vcc_hi, v2   ; encoding: [0x6b,0x04,0x0a,0x0e]

v_mul_legacy_f32 v5, ttmp15, v2
// GFX13: v_mul_dx9_zero_f32_e32 v5, ttmp15, v2   ; encoding: [0x7b,0x04,0x0a,0x0e]

v_mul_legacy_f32 v5, m0, v2
// GFX13: v_mul_dx9_zero_f32_e32 v5, m0, v2       ; encoding: [0x7d,0x04,0x0a,0x0e]

v_mul_legacy_f32 v5, exec_lo, v2
// GFX13: v_mul_dx9_zero_f32_e32 v5, exec_lo, v2  ; encoding: [0x7e,0x04,0x0a,0x0e]

v_mul_legacy_f32 v5, exec_hi, v2
// GFX13: v_mul_dx9_zero_f32_e32 v5, exec_hi, v2  ; encoding: [0x7f,0x04,0x0a,0x0e]

v_mul_legacy_f32 v5, null, v2
// GFX13: v_mul_dx9_zero_f32_e32 v5, null, v2     ; encoding: [0x7c,0x04,0x0a,0x0e]

v_mul_legacy_f32 v5, -1, v2
// GFX13: v_mul_dx9_zero_f32_e32 v5, -1, v2       ; encoding: [0xc1,0x04,0x0a,0x0e]

v_mul_legacy_f32 v5, 0.5, v2
// GFX13: v_mul_dx9_zero_f32_e32 v5, 0.5, v2      ; encoding: [0xf0,0x04,0x0a,0x0e]

v_mul_legacy_f32 v5, src_scc, v2
// GFX13: v_mul_dx9_zero_f32_e32 v5, src_scc, v2  ; encoding: [0xfd,0x04,0x0a,0x0e]

v_mul_legacy_f32 v255, 0xaf123456, v255
// GFX13: v_mul_dx9_zero_f32_e32 v255, 0xaf123456, v255 ; encoding: [0xff,0xfe,0xff,0x0f,0x56,0x34,0x12,0xaf]

v_mul_u32_u24 v5, v1, v2
// GFX13: v_mul_u32_u24_e32 v5, v1, v2            ; encoding: [0x01,0x05,0x0a,0x16]

v_mul_u32_u24 v5, v255, v2
// GFX13: v_mul_u32_u24_e32 v5, v255, v2          ; encoding: [0xff,0x05,0x0a,0x16]

v_mul_u32_u24 v5, s1, v2
// GFX13: v_mul_u32_u24_e32 v5, s1, v2            ; encoding: [0x01,0x04,0x0a,0x16]

v_mul_u32_u24 v5, s105, v2
// GFX13: v_mul_u32_u24_e32 v5, s105, v2          ; encoding: [0x69,0x04,0x0a,0x16]

v_mul_u32_u24 v5, vcc_lo, v2
// GFX13: v_mul_u32_u24_e32 v5, vcc_lo, v2        ; encoding: [0x6a,0x04,0x0a,0x16]

v_mul_u32_u24 v5, vcc_hi, v2
// GFX13: v_mul_u32_u24_e32 v5, vcc_hi, v2        ; encoding: [0x6b,0x04,0x0a,0x16]

v_mul_u32_u24 v5, ttmp15, v2
// GFX13: v_mul_u32_u24_e32 v5, ttmp15, v2        ; encoding: [0x7b,0x04,0x0a,0x16]

v_mul_u32_u24 v5, m0, v2
// GFX13: v_mul_u32_u24_e32 v5, m0, v2            ; encoding: [0x7d,0x04,0x0a,0x16]

v_mul_u32_u24 v5, exec_lo, v2
// GFX13: v_mul_u32_u24_e32 v5, exec_lo, v2       ; encoding: [0x7e,0x04,0x0a,0x16]

v_mul_u32_u24 v5, exec_hi, v2
// GFX13: v_mul_u32_u24_e32 v5, exec_hi, v2       ; encoding: [0x7f,0x04,0x0a,0x16]

v_mul_u32_u24 v5, null, v2
// GFX13: v_mul_u32_u24_e32 v5, null, v2          ; encoding: [0x7c,0x04,0x0a,0x16]

v_mul_u32_u24 v5, -1, v2
// GFX13: v_mul_u32_u24_e32 v5, -1, v2            ; encoding: [0xc1,0x04,0x0a,0x16]

v_mul_u32_u24 v5, 0.5, v2
// GFX13: v_mul_u32_u24_e32 v5, 0.5, v2           ; encoding: [0xf0,0x04,0x0a,0x16]

v_mul_u32_u24 v5, src_scc, v2
// GFX13: v_mul_u32_u24_e32 v5, src_scc, v2       ; encoding: [0xfd,0x04,0x0a,0x16]

v_mul_u32_u24 v255, 0xaf123456, v255
// GFX13: v_mul_u32_u24_e32 v255, 0xaf123456, v255 ; encoding: [0xff,0xfe,0xff,0x17,0x56,0x34,0x12,0xaf]

v_or_b32 v5, v1, v2
// GFX13: v_or_b32_e32 v5, v1, v2                 ; encoding: [0x01,0x05,0x0a,0x38]

v_or_b32 v5, v255, v2
// GFX13: v_or_b32_e32 v5, v255, v2               ; encoding: [0xff,0x05,0x0a,0x38]

v_or_b32 v5, s1, v2
// GFX13: v_or_b32_e32 v5, s1, v2                 ; encoding: [0x01,0x04,0x0a,0x38]

v_or_b32 v5, s105, v2
// GFX13: v_or_b32_e32 v5, s105, v2               ; encoding: [0x69,0x04,0x0a,0x38]

v_or_b32 v5, vcc_lo, v2
// GFX13: v_or_b32_e32 v5, vcc_lo, v2             ; encoding: [0x6a,0x04,0x0a,0x38]

v_or_b32 v5, vcc_hi, v2
// GFX13: v_or_b32_e32 v5, vcc_hi, v2             ; encoding: [0x6b,0x04,0x0a,0x38]

v_or_b32 v5, ttmp15, v2
// GFX13: v_or_b32_e32 v5, ttmp15, v2             ; encoding: [0x7b,0x04,0x0a,0x38]

v_or_b32 v5, m0, v2
// GFX13: v_or_b32_e32 v5, m0, v2                 ; encoding: [0x7d,0x04,0x0a,0x38]

v_or_b32 v5, exec_lo, v2
// GFX13: v_or_b32_e32 v5, exec_lo, v2            ; encoding: [0x7e,0x04,0x0a,0x38]

v_or_b32 v5, exec_hi, v2
// GFX13: v_or_b32_e32 v5, exec_hi, v2            ; encoding: [0x7f,0x04,0x0a,0x38]

v_or_b32 v5, null, v2
// GFX13: v_or_b32_e32 v5, null, v2               ; encoding: [0x7c,0x04,0x0a,0x38]

v_or_b32 v5, -1, v2
// GFX13: v_or_b32_e32 v5, -1, v2                 ; encoding: [0xc1,0x04,0x0a,0x38]

v_or_b32 v5, 0.5, v2
// GFX13: v_or_b32_e32 v5, 0.5, v2                ; encoding: [0xf0,0x04,0x0a,0x38]

v_or_b32 v5, src_scc, v2
// GFX13: v_or_b32_e32 v5, src_scc, v2            ; encoding: [0xfd,0x04,0x0a,0x38]

v_or_b32 v255, 0xaf123456, v255
// GFX13: v_or_b32_e32 v255, 0xaf123456, v255     ; encoding: [0xff,0xfe,0xff,0x39,0x56,0x34,0x12,0xaf]

v_pk_fmac_f16 v5, v1, v2
// GFX13: v_pk_fmac_f16 v5, v1, v2                ; encoding: [0x01,0x05,0x0a,0x78]

v_pk_fmac_f16 v5, v255, v2
// GFX13: v_pk_fmac_f16 v5, v255, v2              ; encoding: [0xff,0x05,0x0a,0x78]

v_pk_fmac_f16 v5, s1, v2
// GFX13: v_pk_fmac_f16 v5, s1, v2                ; encoding: [0x01,0x04,0x0a,0x78]

v_pk_fmac_f16 v5, s105, v2
// GFX13: v_pk_fmac_f16 v5, s105, v2              ; encoding: [0x69,0x04,0x0a,0x78]

v_pk_fmac_f16 v5, vcc_lo, v2
// GFX13: v_pk_fmac_f16 v5, vcc_lo, v2            ; encoding: [0x6a,0x04,0x0a,0x78]

v_pk_fmac_f16 v5, vcc_hi, v2
// GFX13: v_pk_fmac_f16 v5, vcc_hi, v2            ; encoding: [0x6b,0x04,0x0a,0x78]

v_pk_fmac_f16 v5, ttmp15, v2
// GFX13: v_pk_fmac_f16 v5, ttmp15, v2            ; encoding: [0x7b,0x04,0x0a,0x78]

v_pk_fmac_f16 v5, m0, v2
// GFX13: v_pk_fmac_f16 v5, m0, v2                ; encoding: [0x7d,0x04,0x0a,0x78]

v_pk_fmac_f16 v5, exec_lo, v2
// GFX13: v_pk_fmac_f16 v5, exec_lo, v2           ; encoding: [0x7e,0x04,0x0a,0x78]

v_pk_fmac_f16 v5, exec_hi, v2
// GFX13: v_pk_fmac_f16 v5, exec_hi, v2           ; encoding: [0x7f,0x04,0x0a,0x78]

v_pk_fmac_f16 v5, null, v2
// GFX13: v_pk_fmac_f16 v5, null, v2              ; encoding: [0x7c,0x04,0x0a,0x78]

v_pk_fmac_f16 v5, -1, v2
// GFX13: v_pk_fmac_f16 v5, -1, v2                ; encoding: [0xc1,0x04,0x0a,0x78]

v_pk_fmac_f16 v5, 0.5, v2
// GFX13: v_pk_fmac_f16 v5, 0x3800, v2            ; encoding: [0xff,0x04,0x0a,0x78,0x00,0x38,0x00,0x00]

v_pk_fmac_f16 v5, src_scc, v2
// GFX13: v_pk_fmac_f16 v5, src_scc, v2           ; encoding: [0xfd,0x04,0x0a,0x78]

v_pk_fmac_f16 v255, 0xfe0b, v255
// GFX13: v_pk_fmac_f16 v255, 0xfe0b, v255        ; encoding: [0xff,0xfe,0xff,0x79,0x0b,0xfe,0x00,0x00]

v_sub_co_ci_u32 v5, vcc_lo, v1, v2, vcc_lo
// W32: v_sub_co_ci_u32_e32 v5, vcc_lo, v1, v2, vcc_lo ; encoding: [0x01,0x05,0x0a,0x52]
// W64-ERR: :[[@LINE-2]]:1: error: operands are not valid for this GPU or mode

v_sub_co_ci_u32 v5, vcc_lo, v255, v2, vcc_lo
// W32: v_sub_co_ci_u32_e32 v5, vcc_lo, v255, v2, vcc_lo ; encoding: [0xff,0x05,0x0a,0x52]
// W64-ERR: :[[@LINE-2]]:1: error: operands are not valid for this GPU or mode
	;; [unrolled: 4-line block ×4, first 2 shown]

v_sub_co_ci_u32 v5, vcc_lo, vcc_lo, v2, vcc_lo
// W32: v_sub_co_ci_u32_e32 v5, vcc_lo, vcc_lo, v2, vcc_lo ; encoding: [0x6a,0x04,0x0a,0x52]
// W64-ERR: :[[@LINE-2]]:1: error: operands are not valid for this GPU or mode

v_sub_co_ci_u32 v5, vcc_lo, vcc_hi, v2, vcc_lo
// W32: v_sub_co_ci_u32_e32 v5, vcc_lo, vcc_hi, v2, vcc_lo ; encoding: [0x6b,0x04,0x0a,0x52]
// W64-ERR: :[[@LINE-2]]:1: error: operands are not valid for this GPU or mode

v_sub_co_ci_u32 v5, vcc_lo, ttmp15, v2, vcc_lo
// W32: v_sub_co_ci_u32_e32 v5, vcc_lo, ttmp15, v2, vcc_lo ; encoding: [0x7b,0x04,0x0a,0x52]
// W64-ERR: :[[@LINE-2]]:1: error: operands are not valid for this GPU or mode

v_sub_co_ci_u32 v5, vcc_lo, m0, v2, vcc_lo
// W32: v_sub_co_ci_u32_e32 v5, vcc_lo, m0, v2, vcc_lo ; encoding: [0x7d,0x04,0x0a,0x52]
// W64-ERR: :[[@LINE-2]]:1: error: operands are not valid for this GPU or mode

v_sub_co_ci_u32 v5, vcc_lo, exec_lo, v2, vcc_lo
// W32: v_sub_co_ci_u32_e32 v5, vcc_lo, exec_lo, v2, vcc_lo ; encoding: [0x7e,0x04,0x0a,0x52]
// W64-ERR: :[[@LINE-2]]:1: error: operands are not valid for this GPU or mode

v_sub_co_ci_u32 v5, vcc_lo, exec_hi, v2, vcc_lo
// W32: v_sub_co_ci_u32_e32 v5, vcc_lo, exec_hi, v2, vcc_lo ; encoding: [0x7f,0x04,0x0a,0x52]
// W64-ERR: :[[@LINE-2]]:1: error: operands are not valid for this GPU or mode

v_sub_co_ci_u32 v5, vcc_lo, null, v2, vcc_lo
// W32: v_sub_co_ci_u32_e32 v5, vcc_lo, null, v2, vcc_lo ; encoding: [0x7c,0x04,0x0a,0x52]
// W64-ERR: :[[@LINE-2]]:1: error: operands are not valid for this GPU or mode

v_sub_co_ci_u32 v5, vcc_lo, -1, v2, vcc_lo
// W32: v_sub_co_ci_u32_e32 v5, vcc_lo, -1, v2, vcc_lo ; encoding: [0xc1,0x04,0x0a,0x52]
// W64-ERR: :[[@LINE-2]]:1: error: operands are not valid for this GPU or mode

v_sub_co_ci_u32 v5, vcc_lo, 0.5, v2, vcc_lo
// W32: v_sub_co_ci_u32_e32 v5, vcc_lo, 0.5, v2, vcc_lo ; encoding: [0xf0,0x04,0x0a,0x52]
// W64-ERR: :[[@LINE-2]]:1: error: operands are not valid for this GPU or mode

v_sub_co_ci_u32 v5, vcc_lo, src_scc, v2, vcc_lo
// W32: v_sub_co_ci_u32_e32 v5, vcc_lo, src_scc, v2, vcc_lo ; encoding: [0xfd,0x04,0x0a,0x52]
// W64-ERR: :[[@LINE-2]]:1: error: operands are not valid for this GPU or mode

v_sub_co_ci_u32 v255, vcc_lo, 0xaf123456, v255, vcc_lo
// W32: v_sub_co_ci_u32_e32 v255, vcc_lo, 0xaf123456, v255, vcc_lo ; encoding: [0xff,0xfe,0xff,0x53,0x56,0x34,0x12,0xaf]
// W64-ERR: :[[@LINE-2]]:1: error: operands are not valid for this GPU or mode

v_sub_co_ci_u32 v5, vcc, v1, v2, vcc
// W32-ERR: :[[@LINE-1]]:1: error: operands are not valid for this GPU or mode
// W64: v_sub_co_ci_u32_e32 v5, vcc, v1, v2, vcc ; encoding: [0x01,0x05,0x0a,0x52]

v_sub_co_ci_u32 v5, vcc, v255, v2, vcc
// W32-ERR: :[[@LINE-1]]:1: error: operands are not valid for this GPU or mode
// W64: v_sub_co_ci_u32_e32 v5, vcc, v255, v2, vcc ; encoding: [0xff,0x05,0x0a,0x52]
	;; [unrolled: 4-line block ×4, first 2 shown]

v_sub_co_ci_u32 v5, vcc, vcc_lo, v2, vcc
// W32-ERR: :[[@LINE-1]]:1: error: operands are not valid for this GPU or mode
// W64: v_sub_co_ci_u32_e32 v5, vcc, vcc_lo, v2, vcc ; encoding: [0x6a,0x04,0x0a,0x52]

v_sub_co_ci_u32 v5, vcc, vcc_hi, v2, vcc
// W32-ERR: :[[@LINE-1]]:1: error: operands are not valid for this GPU or mode
// W64: v_sub_co_ci_u32_e32 v5, vcc, vcc_hi, v2, vcc ; encoding: [0x6b,0x04,0x0a,0x52]

v_sub_co_ci_u32 v5, vcc, ttmp15, v2, vcc
// W32-ERR: :[[@LINE-1]]:1: error: operands are not valid for this GPU or mode
// W64: v_sub_co_ci_u32_e32 v5, vcc, ttmp15, v2, vcc ; encoding: [0x7b,0x04,0x0a,0x52]

v_sub_co_ci_u32 v5, vcc, m0, v2, vcc
// W32-ERR: :[[@LINE-1]]:1: error: operands are not valid for this GPU or mode
// W64: v_sub_co_ci_u32_e32 v5, vcc, m0, v2, vcc ; encoding: [0x7d,0x04,0x0a,0x52]

v_sub_co_ci_u32 v5, vcc, exec_lo, v2, vcc
// W32-ERR: :[[@LINE-1]]:1: error: operands are not valid for this GPU or mode
// W64: v_sub_co_ci_u32_e32 v5, vcc, exec_lo, v2, vcc ; encoding: [0x7e,0x04,0x0a,0x52]

v_sub_co_ci_u32 v5, vcc, exec_hi, v2, vcc
// W32-ERR: :[[@LINE-1]]:1: error: operands are not valid for this GPU or mode
// W64: v_sub_co_ci_u32_e32 v5, vcc, exec_hi, v2, vcc ; encoding: [0x7f,0x04,0x0a,0x52]

v_sub_co_ci_u32 v5, vcc, null, v2, vcc
// W32-ERR: :[[@LINE-1]]:1: error: operands are not valid for this GPU or mode
// W64: v_sub_co_ci_u32_e32 v5, vcc, null, v2, vcc ; encoding: [0x7c,0x04,0x0a,0x52]

v_sub_co_ci_u32 v5, vcc, -1, v2, vcc
// W32-ERR: :[[@LINE-1]]:1: error: operands are not valid for this GPU or mode
// W64: v_sub_co_ci_u32_e32 v5, vcc, -1, v2, vcc ; encoding: [0xc1,0x04,0x0a,0x52]

v_sub_co_ci_u32 v5, vcc, 0.5, v2, vcc
// W32-ERR: :[[@LINE-1]]:1: error: operands are not valid for this GPU or mode
// W64: v_sub_co_ci_u32_e32 v5, vcc, 0.5, v2, vcc ; encoding: [0xf0,0x04,0x0a,0x52]

v_sub_co_ci_u32 v5, vcc, src_scc, v2, vcc
// W32-ERR: :[[@LINE-1]]:1: error: operands are not valid for this GPU or mode
// W64: v_sub_co_ci_u32_e32 v5, vcc, src_scc, v2, vcc ; encoding: [0xfd,0x04,0x0a,0x52]

v_sub_co_ci_u32 v255, vcc, 0xaf123456, v255, vcc
// W32-ERR: :[[@LINE-1]]:1: error: operands are not valid for this GPU or mode
// W64: v_sub_co_ci_u32_e32 v255, vcc, 0xaf123456, v255, vcc ; encoding: [0xff,0xfe,0xff,0x53,0x56,0x34,0x12,0xaf]

v_sub_f16 v5.l, v1.l, v2.l
// GFX13: v_sub_f16_e32 v5.l, v1.l, v2.l          ; encoding: [0x01,0x05,0x0a,0x66]

v_sub_f16 v5.l, v127.l, v2.l
// GFX13: v_sub_f16_e32 v5.l, v127.l, v2.l        ; encoding: [0x7f,0x05,0x0a,0x66]

v_sub_f16 v5.l, s1, v2.l
// GFX13: v_sub_f16_e32 v5.l, s1, v2.l            ; encoding: [0x01,0x04,0x0a,0x66]

v_sub_f16 v5.l, s105, v2.l
// GFX13: v_sub_f16_e32 v5.l, s105, v2.l          ; encoding: [0x69,0x04,0x0a,0x66]

v_sub_f16 v5.l, vcc_lo, v2.l
// GFX13: v_sub_f16_e32 v5.l, vcc_lo, v2.l        ; encoding: [0x6a,0x04,0x0a,0x66]

v_sub_f16 v5.l, vcc_hi, v2.l
// GFX13: v_sub_f16_e32 v5.l, vcc_hi, v2.l        ; encoding: [0x6b,0x04,0x0a,0x66]

v_sub_f16 v5.l, ttmp15, v2.l
// GFX13: v_sub_f16_e32 v5.l, ttmp15, v2.l        ; encoding: [0x7b,0x04,0x0a,0x66]

v_sub_f16 v5.l, m0, v2.l
// GFX13: v_sub_f16_e32 v5.l, m0, v2.l            ; encoding: [0x7d,0x04,0x0a,0x66]

v_sub_f16 v5.l, exec_lo, v2.l
// GFX13: v_sub_f16_e32 v5.l, exec_lo, v2.l       ; encoding: [0x7e,0x04,0x0a,0x66]

v_sub_f16 v5.l, exec_hi, v2.l
// GFX13: v_sub_f16_e32 v5.l, exec_hi, v2.l       ; encoding: [0x7f,0x04,0x0a,0x66]

v_sub_f16 v5.l, null, v2.l
// GFX13: v_sub_f16_e32 v5.l, null, v2.l          ; encoding: [0x7c,0x04,0x0a,0x66]

v_sub_f16 v5.l, -1, v2.l
// GFX13: v_sub_f16_e32 v5.l, -1, v2.l            ; encoding: [0xc1,0x04,0x0a,0x66]

v_sub_f16 v5.l, 0.5, v2.l
// GFX13: v_sub_f16_e32 v5.l, 0.5, v2.l           ; encoding: [0xf0,0x04,0x0a,0x66]

v_sub_f16 v5.l, src_scc, v2.l
// GFX13: v_sub_f16_e32 v5.l, src_scc, v2.l       ; encoding: [0xfd,0x04,0x0a,0x66]

v_sub_f16 v127.l, 0xfe0b, v127.l
// GFX13: v_sub_f16_e32 v127.l, 0xfe0b, v127.l    ; encoding: [0xff,0xfe,0xfe,0x66,0x0b,0xfe,0x00,0x00]

v_sub_f32 v5, v1, v2
// GFX13: v_sub_f32_e32 v5, v1, v2                ; encoding: [0x01,0x05,0x0a,0x08]

v_sub_f32 v5, v255, v2
// GFX13: v_sub_f32_e32 v5, v255, v2              ; encoding: [0xff,0x05,0x0a,0x08]

v_sub_f32 v5, s1, v2
// GFX13: v_sub_f32_e32 v5, s1, v2                ; encoding: [0x01,0x04,0x0a,0x08]

v_sub_f32 v5, s105, v2
// GFX13: v_sub_f32_e32 v5, s105, v2              ; encoding: [0x69,0x04,0x0a,0x08]

v_sub_f32 v5, vcc_lo, v2
// GFX13: v_sub_f32_e32 v5, vcc_lo, v2            ; encoding: [0x6a,0x04,0x0a,0x08]

v_sub_f32 v5, vcc_hi, v2
// GFX13: v_sub_f32_e32 v5, vcc_hi, v2            ; encoding: [0x6b,0x04,0x0a,0x08]

v_sub_f32 v5, ttmp15, v2
// GFX13: v_sub_f32_e32 v5, ttmp15, v2            ; encoding: [0x7b,0x04,0x0a,0x08]

v_sub_f32 v5, m0, v2
// GFX13: v_sub_f32_e32 v5, m0, v2                ; encoding: [0x7d,0x04,0x0a,0x08]

v_sub_f32 v5, exec_lo, v2
// GFX13: v_sub_f32_e32 v5, exec_lo, v2           ; encoding: [0x7e,0x04,0x0a,0x08]

v_sub_f32 v5, exec_hi, v2
// GFX13: v_sub_f32_e32 v5, exec_hi, v2           ; encoding: [0x7f,0x04,0x0a,0x08]

v_sub_f32 v5, null, v2
// GFX13: v_sub_f32_e32 v5, null, v2              ; encoding: [0x7c,0x04,0x0a,0x08]

v_sub_f32 v5, -1, v2
// GFX13: v_sub_f32_e32 v5, -1, v2                ; encoding: [0xc1,0x04,0x0a,0x08]

v_sub_f32 v5, 0.5, v2
// GFX13: v_sub_f32_e32 v5, 0.5, v2               ; encoding: [0xf0,0x04,0x0a,0x08]

v_sub_f32 v5, src_scc, v2
// GFX13: v_sub_f32_e32 v5, src_scc, v2           ; encoding: [0xfd,0x04,0x0a,0x08]

v_sub_f32 v255, 0xaf123456, v255
// GFX13: v_sub_f32_e32 v255, 0xaf123456, v255    ; encoding: [0xff,0xfe,0xff,0x09,0x56,0x34,0x12,0xaf]

v_sub_nc_u32 v5, v1, v2
// GFX13: v_sub_nc_u32_e32 v5, v1, v2             ; encoding: [0x01,0x05,0x0a,0x4c]

v_sub_nc_u32 v5, v255, v2
// GFX13: v_sub_nc_u32_e32 v5, v255, v2           ; encoding: [0xff,0x05,0x0a,0x4c]

v_sub_nc_u32 v5, s1, v2
// GFX13: v_sub_nc_u32_e32 v5, s1, v2             ; encoding: [0x01,0x04,0x0a,0x4c]

v_sub_nc_u32 v5, s105, v2
// GFX13: v_sub_nc_u32_e32 v5, s105, v2           ; encoding: [0x69,0x04,0x0a,0x4c]

v_sub_nc_u32 v5, vcc_lo, v2
// GFX13: v_sub_nc_u32_e32 v5, vcc_lo, v2         ; encoding: [0x6a,0x04,0x0a,0x4c]

v_sub_nc_u32 v5, vcc_hi, v2
// GFX13: v_sub_nc_u32_e32 v5, vcc_hi, v2         ; encoding: [0x6b,0x04,0x0a,0x4c]

v_sub_nc_u32 v5, ttmp15, v2
// GFX13: v_sub_nc_u32_e32 v5, ttmp15, v2         ; encoding: [0x7b,0x04,0x0a,0x4c]

v_sub_nc_u32 v5, m0, v2
// GFX13: v_sub_nc_u32_e32 v5, m0, v2             ; encoding: [0x7d,0x04,0x0a,0x4c]

v_sub_nc_u32 v5, exec_lo, v2
// GFX13: v_sub_nc_u32_e32 v5, exec_lo, v2        ; encoding: [0x7e,0x04,0x0a,0x4c]

v_sub_nc_u32 v5, exec_hi, v2
// GFX13: v_sub_nc_u32_e32 v5, exec_hi, v2        ; encoding: [0x7f,0x04,0x0a,0x4c]

v_sub_nc_u32 v5, null, v2
// GFX13: v_sub_nc_u32_e32 v5, null, v2           ; encoding: [0x7c,0x04,0x0a,0x4c]

v_sub_nc_u32 v5, -1, v2
// GFX13: v_sub_nc_u32_e32 v5, -1, v2             ; encoding: [0xc1,0x04,0x0a,0x4c]

v_sub_nc_u32 v5, 0.5, v2
// GFX13: v_sub_nc_u32_e32 v5, 0.5, v2            ; encoding: [0xf0,0x04,0x0a,0x4c]

v_sub_nc_u32 v5, src_scc, v2
// GFX13: v_sub_nc_u32_e32 v5, src_scc, v2        ; encoding: [0xfd,0x04,0x0a,0x4c]

v_sub_nc_u32 v255, 0xaf123456, v255
// GFX13: v_sub_nc_u32_e32 v255, 0xaf123456, v255 ; encoding: [0xff,0xfe,0xff,0x4d,0x56,0x34,0x12,0xaf]

v_subrev_co_ci_u32 v5, vcc_lo, v1, v2, vcc_lo
// W32: v_subrev_co_ci_u32_e32 v5, vcc_lo, v1, v2, vcc_lo ; encoding: [0x01,0x05,0x0a,0x54]
// W64-ERR: :[[@LINE-2]]:1: error: operands are not valid for this GPU or mode

v_subrev_co_ci_u32 v5, vcc_lo, v255, v2, vcc_lo
// W32: v_subrev_co_ci_u32_e32 v5, vcc_lo, v255, v2, vcc_lo ; encoding: [0xff,0x05,0x0a,0x54]
// W64-ERR: :[[@LINE-2]]:1: error: operands are not valid for this GPU or mode
	;; [unrolled: 4-line block ×4, first 2 shown]

v_subrev_co_ci_u32 v5, vcc_lo, vcc_lo, v2, vcc_lo
// W32: v_subrev_co_ci_u32_e32 v5, vcc_lo, vcc_lo, v2, vcc_lo ; encoding: [0x6a,0x04,0x0a,0x54]
// W64-ERR: :[[@LINE-2]]:1: error: operands are not valid for this GPU or mode

v_subrev_co_ci_u32 v5, vcc_lo, vcc_hi, v2, vcc_lo
// W32: v_subrev_co_ci_u32_e32 v5, vcc_lo, vcc_hi, v2, vcc_lo ; encoding: [0x6b,0x04,0x0a,0x54]
// W64-ERR: :[[@LINE-2]]:1: error: operands are not valid for this GPU or mode

v_subrev_co_ci_u32 v5, vcc_lo, ttmp15, v2, vcc_lo
// W32: v_subrev_co_ci_u32_e32 v5, vcc_lo, ttmp15, v2, vcc_lo ; encoding: [0x7b,0x04,0x0a,0x54]
// W64-ERR: :[[@LINE-2]]:1: error: operands are not valid for this GPU or mode

v_subrev_co_ci_u32 v5, vcc_lo, m0, v2, vcc_lo
// W32: v_subrev_co_ci_u32_e32 v5, vcc_lo, m0, v2, vcc_lo ; encoding: [0x7d,0x04,0x0a,0x54]
// W64-ERR: :[[@LINE-2]]:1: error: operands are not valid for this GPU or mode

v_subrev_co_ci_u32 v5, vcc_lo, exec_lo, v2, vcc_lo
// W32: v_subrev_co_ci_u32_e32 v5, vcc_lo, exec_lo, v2, vcc_lo ; encoding: [0x7e,0x04,0x0a,0x54]
// W64-ERR: :[[@LINE-2]]:1: error: operands are not valid for this GPU or mode

v_subrev_co_ci_u32 v5, vcc_lo, exec_hi, v2, vcc_lo
// W32: v_subrev_co_ci_u32_e32 v5, vcc_lo, exec_hi, v2, vcc_lo ; encoding: [0x7f,0x04,0x0a,0x54]
// W64-ERR: :[[@LINE-2]]:1: error: operands are not valid for this GPU or mode

v_subrev_co_ci_u32 v5, vcc_lo, null, v2, vcc_lo
// W32: v_subrev_co_ci_u32_e32 v5, vcc_lo, null, v2, vcc_lo ; encoding: [0x7c,0x04,0x0a,0x54]
// W64-ERR: :[[@LINE-2]]:1: error: operands are not valid for this GPU or mode

v_subrev_co_ci_u32 v5, vcc_lo, -1, v2, vcc_lo
// W32: v_subrev_co_ci_u32_e32 v5, vcc_lo, -1, v2, vcc_lo ; encoding: [0xc1,0x04,0x0a,0x54]
// W64-ERR: :[[@LINE-2]]:1: error: operands are not valid for this GPU or mode

v_subrev_co_ci_u32 v5, vcc_lo, 0.5, v2, vcc_lo
// W32: v_subrev_co_ci_u32_e32 v5, vcc_lo, 0.5, v2, vcc_lo ; encoding: [0xf0,0x04,0x0a,0x54]
// W64-ERR: :[[@LINE-2]]:1: error: operands are not valid for this GPU or mode

v_subrev_co_ci_u32 v5, vcc_lo, src_scc, v2, vcc_lo
// W32: v_subrev_co_ci_u32_e32 v5, vcc_lo, src_scc, v2, vcc_lo ; encoding: [0xfd,0x04,0x0a,0x54]
// W64-ERR: :[[@LINE-2]]:1: error: operands are not valid for this GPU or mode

v_subrev_co_ci_u32 v255, vcc_lo, 0xaf123456, v255, vcc_lo
// W32: v_subrev_co_ci_u32_e32 v255, vcc_lo, 0xaf123456, v255, vcc_lo ; encoding: [0xff,0xfe,0xff,0x55,0x56,0x34,0x12,0xaf]
// W64-ERR: :[[@LINE-2]]:1: error: operands are not valid for this GPU or mode

v_subrev_co_ci_u32 v5, vcc, v1, v2, vcc
// W32-ERR: :[[@LINE-1]]:1: error: operands are not valid for this GPU or mode
// W64: v_subrev_co_ci_u32_e32 v5, vcc, v1, v2, vcc ; encoding: [0x01,0x05,0x0a,0x54]

v_subrev_co_ci_u32 v5, vcc, v255, v2, vcc
// W32-ERR: :[[@LINE-1]]:1: error: operands are not valid for this GPU or mode
// W64: v_subrev_co_ci_u32_e32 v5, vcc, v255, v2, vcc ; encoding: [0xff,0x05,0x0a,0x54]
	;; [unrolled: 4-line block ×4, first 2 shown]

v_subrev_co_ci_u32 v5, vcc, vcc_lo, v2, vcc
// W32-ERR: :[[@LINE-1]]:1: error: operands are not valid for this GPU or mode
// W64: v_subrev_co_ci_u32_e32 v5, vcc, vcc_lo, v2, vcc ; encoding: [0x6a,0x04,0x0a,0x54]

v_subrev_co_ci_u32 v5, vcc, vcc_hi, v2, vcc
// W32-ERR: :[[@LINE-1]]:1: error: operands are not valid for this GPU or mode
// W64: v_subrev_co_ci_u32_e32 v5, vcc, vcc_hi, v2, vcc ; encoding: [0x6b,0x04,0x0a,0x54]

v_subrev_co_ci_u32 v5, vcc, ttmp15, v2, vcc
// W32-ERR: :[[@LINE-1]]:1: error: operands are not valid for this GPU or mode
// W64: v_subrev_co_ci_u32_e32 v5, vcc, ttmp15, v2, vcc ; encoding: [0x7b,0x04,0x0a,0x54]

v_subrev_co_ci_u32 v5, vcc, m0, v2, vcc
// W32-ERR: :[[@LINE-1]]:1: error: operands are not valid for this GPU or mode
// W64: v_subrev_co_ci_u32_e32 v5, vcc, m0, v2, vcc ; encoding: [0x7d,0x04,0x0a,0x54]

v_subrev_co_ci_u32 v5, vcc, exec_lo, v2, vcc
// W32-ERR: :[[@LINE-1]]:1: error: operands are not valid for this GPU or mode
// W64: v_subrev_co_ci_u32_e32 v5, vcc, exec_lo, v2, vcc ; encoding: [0x7e,0x04,0x0a,0x54]

v_subrev_co_ci_u32 v5, vcc, exec_hi, v2, vcc
// W32-ERR: :[[@LINE-1]]:1: error: operands are not valid for this GPU or mode
// W64: v_subrev_co_ci_u32_e32 v5, vcc, exec_hi, v2, vcc ; encoding: [0x7f,0x04,0x0a,0x54]

v_subrev_co_ci_u32 v5, vcc, null, v2, vcc
// W32-ERR: :[[@LINE-1]]:1: error: operands are not valid for this GPU or mode
// W64: v_subrev_co_ci_u32_e32 v5, vcc, null, v2, vcc ; encoding: [0x7c,0x04,0x0a,0x54]

v_subrev_co_ci_u32 v5, vcc, -1, v2, vcc
// W32-ERR: :[[@LINE-1]]:1: error: operands are not valid for this GPU or mode
// W64: v_subrev_co_ci_u32_e32 v5, vcc, -1, v2, vcc ; encoding: [0xc1,0x04,0x0a,0x54]

v_subrev_co_ci_u32 v5, vcc, 0.5, v2, vcc
// W32-ERR: :[[@LINE-1]]:1: error: operands are not valid for this GPU or mode
// W64: v_subrev_co_ci_u32_e32 v5, vcc, 0.5, v2, vcc ; encoding: [0xf0,0x04,0x0a,0x54]

v_subrev_co_ci_u32 v5, vcc, src_scc, v2, vcc
// W32-ERR: :[[@LINE-1]]:1: error: operands are not valid for this GPU or mode
// W64: v_subrev_co_ci_u32_e32 v5, vcc, src_scc, v2, vcc ; encoding: [0xfd,0x04,0x0a,0x54]

v_subrev_co_ci_u32 v255, vcc, 0xaf123456, v255, vcc
// W32-ERR: :[[@LINE-1]]:1: error: operands are not valid for this GPU or mode
// W64: v_subrev_co_ci_u32_e32 v255, vcc, 0xaf123456, v255, vcc ; encoding: [0xff,0xfe,0xff,0x55,0x56,0x34,0x12,0xaf]

v_subrev_f16 v5.l, v1.l, v2.l
// GFX13: v_subrev_f16_e32 v5.l, v1.l, v2.l       ; encoding: [0x01,0x05,0x0a,0x68]

v_subrev_f16 v5.l, v127.l, v2.l
// GFX13: v_subrev_f16_e32 v5.l, v127.l, v2.l     ; encoding: [0x7f,0x05,0x0a,0x68]

v_subrev_f16 v5.l, s1, v2.l
// GFX13: v_subrev_f16_e32 v5.l, s1, v2.l         ; encoding: [0x01,0x04,0x0a,0x68]

v_subrev_f16 v5.l, s105, v2.l
// GFX13: v_subrev_f16_e32 v5.l, s105, v2.l       ; encoding: [0x69,0x04,0x0a,0x68]

v_subrev_f16 v5.l, vcc_lo, v2.l
// GFX13: v_subrev_f16_e32 v5.l, vcc_lo, v2.l     ; encoding: [0x6a,0x04,0x0a,0x68]

v_subrev_f16 v5.l, vcc_hi, v2.l
// GFX13: v_subrev_f16_e32 v5.l, vcc_hi, v2.l     ; encoding: [0x6b,0x04,0x0a,0x68]

v_subrev_f16 v5.l, ttmp15, v2.l
// GFX13: v_subrev_f16_e32 v5.l, ttmp15, v2.l     ; encoding: [0x7b,0x04,0x0a,0x68]

v_subrev_f16 v5.l, m0, v2.l
// GFX13: v_subrev_f16_e32 v5.l, m0, v2.l         ; encoding: [0x7d,0x04,0x0a,0x68]

v_subrev_f16 v5.l, exec_lo, v2.l
// GFX13: v_subrev_f16_e32 v5.l, exec_lo, v2.l    ; encoding: [0x7e,0x04,0x0a,0x68]

v_subrev_f16 v5.l, exec_hi, v2.l
// GFX13: v_subrev_f16_e32 v5.l, exec_hi, v2.l    ; encoding: [0x7f,0x04,0x0a,0x68]

v_subrev_f16 v5.l, null, v2.l
// GFX13: v_subrev_f16_e32 v5.l, null, v2.l       ; encoding: [0x7c,0x04,0x0a,0x68]

v_subrev_f16 v5.l, -1, v2.l
// GFX13: v_subrev_f16_e32 v5.l, -1, v2.l         ; encoding: [0xc1,0x04,0x0a,0x68]

v_subrev_f16 v5.l, 0.5, v2.l
// GFX13: v_subrev_f16_e32 v5.l, 0.5, v2.l        ; encoding: [0xf0,0x04,0x0a,0x68]

v_subrev_f16 v5.l, src_scc, v2.l
// GFX13: v_subrev_f16_e32 v5.l, src_scc, v2.l    ; encoding: [0xfd,0x04,0x0a,0x68]

v_subrev_f16 v127.l, 0xfe0b, v127.l
// GFX13: v_subrev_f16_e32 v127.l, 0xfe0b, v127.l ; encoding: [0xff,0xfe,0xfe,0x68,0x0b,0xfe,0x00,0x00]

v_subrev_f32 v5, v1, v2
// GFX13: v_subrev_f32_e32 v5, v1, v2             ; encoding: [0x01,0x05,0x0a,0x0a]

v_subrev_f32 v5, v255, v2
// GFX13: v_subrev_f32_e32 v5, v255, v2           ; encoding: [0xff,0x05,0x0a,0x0a]

v_subrev_f32 v5, s1, v2
// GFX13: v_subrev_f32_e32 v5, s1, v2             ; encoding: [0x01,0x04,0x0a,0x0a]

v_subrev_f32 v5, s105, v2
// GFX13: v_subrev_f32_e32 v5, s105, v2           ; encoding: [0x69,0x04,0x0a,0x0a]

v_subrev_f32 v5, vcc_lo, v2
// GFX13: v_subrev_f32_e32 v5, vcc_lo, v2         ; encoding: [0x6a,0x04,0x0a,0x0a]

v_subrev_f32 v5, vcc_hi, v2
// GFX13: v_subrev_f32_e32 v5, vcc_hi, v2         ; encoding: [0x6b,0x04,0x0a,0x0a]

v_subrev_f32 v5, ttmp15, v2
// GFX13: v_subrev_f32_e32 v5, ttmp15, v2         ; encoding: [0x7b,0x04,0x0a,0x0a]

v_subrev_f32 v5, m0, v2
// GFX13: v_subrev_f32_e32 v5, m0, v2             ; encoding: [0x7d,0x04,0x0a,0x0a]

v_subrev_f32 v5, exec_lo, v2
// GFX13: v_subrev_f32_e32 v5, exec_lo, v2        ; encoding: [0x7e,0x04,0x0a,0x0a]

v_subrev_f32 v5, exec_hi, v2
// GFX13: v_subrev_f32_e32 v5, exec_hi, v2        ; encoding: [0x7f,0x04,0x0a,0x0a]

v_subrev_f32 v5, null, v2
// GFX13: v_subrev_f32_e32 v5, null, v2           ; encoding: [0x7c,0x04,0x0a,0x0a]

v_subrev_f32 v5, -1, v2
// GFX13: v_subrev_f32_e32 v5, -1, v2             ; encoding: [0xc1,0x04,0x0a,0x0a]

v_subrev_f32 v5, 0.5, v2
// GFX13: v_subrev_f32_e32 v5, 0.5, v2            ; encoding: [0xf0,0x04,0x0a,0x0a]

v_subrev_f32 v5, src_scc, v2
// GFX13: v_subrev_f32_e32 v5, src_scc, v2        ; encoding: [0xfd,0x04,0x0a,0x0a]

v_subrev_f32 v255, 0xaf123456, v255
// GFX13: v_subrev_f32_e32 v255, 0xaf123456, v255 ; encoding: [0xff,0xfe,0xff,0x0b,0x56,0x34,0x12,0xaf]

v_subrev_nc_u32 v5, v1, v2
// GFX13: v_subrev_nc_u32_e32 v5, v1, v2          ; encoding: [0x01,0x05,0x0a,0x4e]

v_subrev_nc_u32 v5, v255, v2
// GFX13: v_subrev_nc_u32_e32 v5, v255, v2        ; encoding: [0xff,0x05,0x0a,0x4e]

v_subrev_nc_u32 v5, s1, v2
// GFX13: v_subrev_nc_u32_e32 v5, s1, v2          ; encoding: [0x01,0x04,0x0a,0x4e]

v_subrev_nc_u32 v5, s105, v2
// GFX13: v_subrev_nc_u32_e32 v5, s105, v2        ; encoding: [0x69,0x04,0x0a,0x4e]

v_subrev_nc_u32 v5, vcc_lo, v2
// GFX13: v_subrev_nc_u32_e32 v5, vcc_lo, v2      ; encoding: [0x6a,0x04,0x0a,0x4e]

v_subrev_nc_u32 v5, vcc_hi, v2
// GFX13: v_subrev_nc_u32_e32 v5, vcc_hi, v2      ; encoding: [0x6b,0x04,0x0a,0x4e]

v_subrev_nc_u32 v5, ttmp15, v2
// GFX13: v_subrev_nc_u32_e32 v5, ttmp15, v2      ; encoding: [0x7b,0x04,0x0a,0x4e]

v_subrev_nc_u32 v5, m0, v2
// GFX13: v_subrev_nc_u32_e32 v5, m0, v2          ; encoding: [0x7d,0x04,0x0a,0x4e]

v_subrev_nc_u32 v5, exec_lo, v2
// GFX13: v_subrev_nc_u32_e32 v5, exec_lo, v2     ; encoding: [0x7e,0x04,0x0a,0x4e]

v_subrev_nc_u32 v5, exec_hi, v2
// GFX13: v_subrev_nc_u32_e32 v5, exec_hi, v2     ; encoding: [0x7f,0x04,0x0a,0x4e]

v_subrev_nc_u32 v5, null, v2
// GFX13: v_subrev_nc_u32_e32 v5, null, v2        ; encoding: [0x7c,0x04,0x0a,0x4e]

v_subrev_nc_u32 v5, -1, v2
// GFX13: v_subrev_nc_u32_e32 v5, -1, v2          ; encoding: [0xc1,0x04,0x0a,0x4e]

v_subrev_nc_u32 v5, 0.5, v2
// GFX13: v_subrev_nc_u32_e32 v5, 0.5, v2         ; encoding: [0xf0,0x04,0x0a,0x4e]

v_subrev_nc_u32 v5, src_scc, v2
// GFX13: v_subrev_nc_u32_e32 v5, src_scc, v2     ; encoding: [0xfd,0x04,0x0a,0x4e]

v_subrev_nc_u32 v255, 0xaf123456, v255
// GFX13: v_subrev_nc_u32_e32 v255, 0xaf123456, v255 ; encoding: [0xff,0xfe,0xff,0x4f,0x56,0x34,0x12,0xaf]

v_xnor_b32 v5, v1, v2
// GFX13: v_xnor_b32_e32 v5, v1, v2               ; encoding: [0x01,0x05,0x0a,0x3c]

v_xnor_b32 v5, v255, v2
// GFX13: v_xnor_b32_e32 v5, v255, v2             ; encoding: [0xff,0x05,0x0a,0x3c]

v_xnor_b32 v5, s1, v2
// GFX13: v_xnor_b32_e32 v5, s1, v2               ; encoding: [0x01,0x04,0x0a,0x3c]

v_xnor_b32 v5, s105, v2
// GFX13: v_xnor_b32_e32 v5, s105, v2             ; encoding: [0x69,0x04,0x0a,0x3c]

v_xnor_b32 v5, vcc_lo, v2
// GFX13: v_xnor_b32_e32 v5, vcc_lo, v2           ; encoding: [0x6a,0x04,0x0a,0x3c]

v_xnor_b32 v5, vcc_hi, v2
// GFX13: v_xnor_b32_e32 v5, vcc_hi, v2           ; encoding: [0x6b,0x04,0x0a,0x3c]

v_xnor_b32 v5, ttmp15, v2
// GFX13: v_xnor_b32_e32 v5, ttmp15, v2           ; encoding: [0x7b,0x04,0x0a,0x3c]

v_xnor_b32 v5, m0, v2
// GFX13: v_xnor_b32_e32 v5, m0, v2               ; encoding: [0x7d,0x04,0x0a,0x3c]

v_xnor_b32 v5, exec_lo, v2
// GFX13: v_xnor_b32_e32 v5, exec_lo, v2          ; encoding: [0x7e,0x04,0x0a,0x3c]

v_xnor_b32 v5, exec_hi, v2
// GFX13: v_xnor_b32_e32 v5, exec_hi, v2          ; encoding: [0x7f,0x04,0x0a,0x3c]

v_xnor_b32 v5, null, v2
// GFX13: v_xnor_b32_e32 v5, null, v2             ; encoding: [0x7c,0x04,0x0a,0x3c]

v_xnor_b32 v5, -1, v2
// GFX13: v_xnor_b32_e32 v5, -1, v2               ; encoding: [0xc1,0x04,0x0a,0x3c]

v_xnor_b32 v5, 0.5, v2
// GFX13: v_xnor_b32_e32 v5, 0.5, v2              ; encoding: [0xf0,0x04,0x0a,0x3c]

v_xnor_b32 v5, src_scc, v2
// GFX13: v_xnor_b32_e32 v5, src_scc, v2          ; encoding: [0xfd,0x04,0x0a,0x3c]

v_xnor_b32 v255, 0xaf123456, v255
// GFX13: v_xnor_b32_e32 v255, 0xaf123456, v255   ; encoding: [0xff,0xfe,0xff,0x3d,0x56,0x34,0x12,0xaf]

v_xor_b32 v5, v1, v2
// GFX13: v_xor_b32_e32 v5, v1, v2                ; encoding: [0x01,0x05,0x0a,0x3a]

v_xor_b32 v5, v255, v2
// GFX13: v_xor_b32_e32 v5, v255, v2              ; encoding: [0xff,0x05,0x0a,0x3a]

v_xor_b32 v5, s1, v2
// GFX13: v_xor_b32_e32 v5, s1, v2                ; encoding: [0x01,0x04,0x0a,0x3a]

v_xor_b32 v5, s105, v2
// GFX13: v_xor_b32_e32 v5, s105, v2              ; encoding: [0x69,0x04,0x0a,0x3a]

v_xor_b32 v5, vcc_lo, v2
// GFX13: v_xor_b32_e32 v5, vcc_lo, v2            ; encoding: [0x6a,0x04,0x0a,0x3a]

v_xor_b32 v5, vcc_hi, v2
// GFX13: v_xor_b32_e32 v5, vcc_hi, v2            ; encoding: [0x6b,0x04,0x0a,0x3a]

v_xor_b32 v5, ttmp15, v2
// GFX13: v_xor_b32_e32 v5, ttmp15, v2            ; encoding: [0x7b,0x04,0x0a,0x3a]

v_xor_b32 v5, m0, v2
// GFX13: v_xor_b32_e32 v5, m0, v2                ; encoding: [0x7d,0x04,0x0a,0x3a]

v_xor_b32 v5, exec_lo, v2
// GFX13: v_xor_b32_e32 v5, exec_lo, v2           ; encoding: [0x7e,0x04,0x0a,0x3a]

v_xor_b32 v5, exec_hi, v2
// GFX13: v_xor_b32_e32 v5, exec_hi, v2           ; encoding: [0x7f,0x04,0x0a,0x3a]

v_xor_b32 v5, null, v2
// GFX13: v_xor_b32_e32 v5, null, v2              ; encoding: [0x7c,0x04,0x0a,0x3a]

v_xor_b32 v5, -1, v2
// GFX13: v_xor_b32_e32 v5, -1, v2                ; encoding: [0xc1,0x04,0x0a,0x3a]

v_xor_b32 v5, 0.5, v2
// GFX13: v_xor_b32_e32 v5, 0.5, v2               ; encoding: [0xf0,0x04,0x0a,0x3a]

v_xor_b32 v5, src_scc, v2
// GFX13: v_xor_b32_e32 v5, src_scc, v2           ; encoding: [0xfd,0x04,0x0a,0x3a]

v_xor_b32 v255, 0xaf123456, v255
// GFX13: v_xor_b32_e32 v255, 0xaf123456, v255    ; encoding: [0xff,0xfe,0xff,0x3b,0x56,0x34,0x12,0xaf]
